;; amdgpu-corpus repo=ROCm/rocFFT kind=compiled arch=gfx1201 opt=O3
	.text
	.amdgcn_target "amdgcn-amd-amdhsa--gfx1201"
	.amdhsa_code_object_version 6
	.protected	fft_rtc_fwd_len2916_factors_6_6_3_3_3_3_wgs_243_tpt_243_halfLds_dp_op_CI_CI_unitstride_sbrr_dirReg ; -- Begin function fft_rtc_fwd_len2916_factors_6_6_3_3_3_3_wgs_243_tpt_243_halfLds_dp_op_CI_CI_unitstride_sbrr_dirReg
	.globl	fft_rtc_fwd_len2916_factors_6_6_3_3_3_3_wgs_243_tpt_243_halfLds_dp_op_CI_CI_unitstride_sbrr_dirReg
	.p2align	8
	.type	fft_rtc_fwd_len2916_factors_6_6_3_3_3_3_wgs_243_tpt_243_halfLds_dp_op_CI_CI_unitstride_sbrr_dirReg,@function
fft_rtc_fwd_len2916_factors_6_6_3_3_3_3_wgs_243_tpt_243_halfLds_dp_op_CI_CI_unitstride_sbrr_dirReg: ; @fft_rtc_fwd_len2916_factors_6_6_3_3_3_3_wgs_243_tpt_243_halfLds_dp_op_CI_CI_unitstride_sbrr_dirReg
; %bb.0:
	s_clause 0x2
	s_load_b128 s[8:11], s[0:1], 0x0
	s_load_b128 s[4:7], s[0:1], 0x58
	;; [unrolled: 1-line block ×3, first 2 shown]
	v_mul_u32_u24_e32 v1, 0x10e, v0
	v_mov_b32_e32 v4, 0
	v_mov_b32_e32 v5, 0
	s_delay_alu instid0(VALU_DEP_3) | instskip(NEXT) | instid1(VALU_DEP_1)
	v_lshrrev_b32_e32 v2, 16, v1
	v_dual_mov_b32 v1, 0 :: v_dual_add_nc_u32 v6, ttmp9, v2
	s_delay_alu instid0(VALU_DEP_1) | instskip(SKIP_2) | instid1(VALU_DEP_1)
	v_mov_b32_e32 v7, v1
	s_wait_kmcnt 0x0
	v_cmp_lt_u64_e64 s2, s[10:11], 2
	s_and_b32 vcc_lo, exec_lo, s2
	s_cbranch_vccnz .LBB0_8
; %bb.1:
	s_load_b64 s[2:3], s[0:1], 0x10
	v_mov_b32_e32 v4, 0
	v_mov_b32_e32 v5, 0
	s_add_nc_u64 s[16:17], s[14:15], 8
	s_add_nc_u64 s[18:19], s[12:13], 8
	s_mov_b64 s[20:21], 1
	s_delay_alu instid0(VALU_DEP_1)
	v_dual_mov_b32 v49, v5 :: v_dual_mov_b32 v48, v4
	s_wait_kmcnt 0x0
	s_add_nc_u64 s[22:23], s[2:3], 8
	s_mov_b32 s3, 0
.LBB0_2:                                ; =>This Inner Loop Header: Depth=1
	s_load_b64 s[24:25], s[22:23], 0x0
                                        ; implicit-def: $vgpr50_vgpr51
	s_mov_b32 s2, exec_lo
	s_wait_kmcnt 0x0
	v_or_b32_e32 v2, s25, v7
	s_delay_alu instid0(VALU_DEP_1)
	v_cmpx_ne_u64_e32 0, v[1:2]
	s_wait_alu 0xfffe
	s_xor_b32 s26, exec_lo, s2
	s_cbranch_execz .LBB0_4
; %bb.3:                                ;   in Loop: Header=BB0_2 Depth=1
	s_cvt_f32_u32 s2, s24
	s_cvt_f32_u32 s27, s25
	s_sub_nc_u64 s[30:31], 0, s[24:25]
	s_wait_alu 0xfffe
	s_delay_alu instid0(SALU_CYCLE_1) | instskip(SKIP_1) | instid1(SALU_CYCLE_2)
	s_fmamk_f32 s2, s27, 0x4f800000, s2
	s_wait_alu 0xfffe
	v_s_rcp_f32 s2, s2
	s_delay_alu instid0(TRANS32_DEP_1) | instskip(SKIP_1) | instid1(SALU_CYCLE_2)
	s_mul_f32 s2, s2, 0x5f7ffffc
	s_wait_alu 0xfffe
	s_mul_f32 s27, s2, 0x2f800000
	s_wait_alu 0xfffe
	s_delay_alu instid0(SALU_CYCLE_2) | instskip(SKIP_1) | instid1(SALU_CYCLE_2)
	s_trunc_f32 s27, s27
	s_wait_alu 0xfffe
	s_fmamk_f32 s2, s27, 0xcf800000, s2
	s_cvt_u32_f32 s29, s27
	s_wait_alu 0xfffe
	s_delay_alu instid0(SALU_CYCLE_1) | instskip(SKIP_1) | instid1(SALU_CYCLE_2)
	s_cvt_u32_f32 s28, s2
	s_wait_alu 0xfffe
	s_mul_u64 s[34:35], s[30:31], s[28:29]
	s_wait_alu 0xfffe
	s_mul_hi_u32 s37, s28, s35
	s_mul_i32 s36, s28, s35
	s_mul_hi_u32 s2, s28, s34
	s_mul_i32 s33, s29, s34
	s_wait_alu 0xfffe
	s_add_nc_u64 s[36:37], s[2:3], s[36:37]
	s_mul_hi_u32 s27, s29, s34
	s_mul_hi_u32 s38, s29, s35
	s_add_co_u32 s2, s36, s33
	s_wait_alu 0xfffe
	s_add_co_ci_u32 s2, s37, s27
	s_mul_i32 s34, s29, s35
	s_add_co_ci_u32 s35, s38, 0
	s_wait_alu 0xfffe
	s_add_nc_u64 s[34:35], s[2:3], s[34:35]
	s_wait_alu 0xfffe
	v_add_co_u32 v2, s2, s28, s34
	s_delay_alu instid0(VALU_DEP_1) | instskip(SKIP_1) | instid1(VALU_DEP_1)
	s_cmp_lg_u32 s2, 0
	s_add_co_ci_u32 s29, s29, s35
	v_readfirstlane_b32 s28, v2
	s_wait_alu 0xfffe
	s_delay_alu instid0(VALU_DEP_1)
	s_mul_u64 s[30:31], s[30:31], s[28:29]
	s_wait_alu 0xfffe
	s_mul_hi_u32 s35, s28, s31
	s_mul_i32 s34, s28, s31
	s_mul_hi_u32 s2, s28, s30
	s_mul_i32 s33, s29, s30
	s_wait_alu 0xfffe
	s_add_nc_u64 s[34:35], s[2:3], s[34:35]
	s_mul_hi_u32 s27, s29, s30
	s_mul_hi_u32 s28, s29, s31
	s_wait_alu 0xfffe
	s_add_co_u32 s2, s34, s33
	s_add_co_ci_u32 s2, s35, s27
	s_mul_i32 s30, s29, s31
	s_add_co_ci_u32 s31, s28, 0
	s_wait_alu 0xfffe
	s_add_nc_u64 s[30:31], s[2:3], s[30:31]
	s_wait_alu 0xfffe
	v_add_co_u32 v8, s2, v2, s30
	s_delay_alu instid0(VALU_DEP_1) | instskip(SKIP_1) | instid1(VALU_DEP_1)
	s_cmp_lg_u32 s2, 0
	s_add_co_ci_u32 s2, s29, s31
	v_mul_hi_u32 v12, v6, v8
	s_wait_alu 0xfffe
	v_mad_co_u64_u32 v[2:3], null, v6, s2, 0
	v_mad_co_u64_u32 v[8:9], null, v7, v8, 0
	;; [unrolled: 1-line block ×3, first 2 shown]
	s_delay_alu instid0(VALU_DEP_3) | instskip(SKIP_1) | instid1(VALU_DEP_4)
	v_add_co_u32 v2, vcc_lo, v12, v2
	s_wait_alu 0xfffd
	v_add_co_ci_u32_e32 v3, vcc_lo, 0, v3, vcc_lo
	s_delay_alu instid0(VALU_DEP_2) | instskip(SKIP_1) | instid1(VALU_DEP_2)
	v_add_co_u32 v2, vcc_lo, v2, v8
	s_wait_alu 0xfffd
	v_add_co_ci_u32_e32 v2, vcc_lo, v3, v9, vcc_lo
	s_wait_alu 0xfffd
	v_add_co_ci_u32_e32 v3, vcc_lo, 0, v11, vcc_lo
	s_delay_alu instid0(VALU_DEP_2) | instskip(SKIP_1) | instid1(VALU_DEP_2)
	v_add_co_u32 v8, vcc_lo, v2, v10
	s_wait_alu 0xfffd
	v_add_co_ci_u32_e32 v9, vcc_lo, 0, v3, vcc_lo
	s_delay_alu instid0(VALU_DEP_2) | instskip(SKIP_1) | instid1(VALU_DEP_3)
	v_mul_lo_u32 v10, s25, v8
	v_mad_co_u64_u32 v[2:3], null, s24, v8, 0
	v_mul_lo_u32 v11, s24, v9
	s_delay_alu instid0(VALU_DEP_2) | instskip(NEXT) | instid1(VALU_DEP_2)
	v_sub_co_u32 v2, vcc_lo, v6, v2
	v_add3_u32 v3, v3, v11, v10
	s_delay_alu instid0(VALU_DEP_1) | instskip(SKIP_1) | instid1(VALU_DEP_1)
	v_sub_nc_u32_e32 v10, v7, v3
	s_wait_alu 0xfffd
	v_subrev_co_ci_u32_e64 v10, s2, s25, v10, vcc_lo
	v_add_co_u32 v11, s2, v8, 2
	s_wait_alu 0xf1ff
	v_add_co_ci_u32_e64 v12, s2, 0, v9, s2
	v_sub_co_u32 v13, s2, v2, s24
	v_sub_co_ci_u32_e32 v3, vcc_lo, v7, v3, vcc_lo
	s_wait_alu 0xf1ff
	v_subrev_co_ci_u32_e64 v10, s2, 0, v10, s2
	s_delay_alu instid0(VALU_DEP_3) | instskip(NEXT) | instid1(VALU_DEP_3)
	v_cmp_le_u32_e32 vcc_lo, s24, v13
	v_cmp_eq_u32_e64 s2, s25, v3
	s_wait_alu 0xfffd
	v_cndmask_b32_e64 v13, 0, -1, vcc_lo
	v_cmp_le_u32_e32 vcc_lo, s25, v10
	s_wait_alu 0xfffd
	v_cndmask_b32_e64 v14, 0, -1, vcc_lo
	v_cmp_le_u32_e32 vcc_lo, s24, v2
	;; [unrolled: 3-line block ×3, first 2 shown]
	s_wait_alu 0xfffd
	v_cndmask_b32_e64 v15, 0, -1, vcc_lo
	v_cmp_eq_u32_e32 vcc_lo, s25, v10
	s_wait_alu 0xf1ff
	s_delay_alu instid0(VALU_DEP_2)
	v_cndmask_b32_e64 v2, v15, v2, s2
	s_wait_alu 0xfffd
	v_cndmask_b32_e32 v10, v14, v13, vcc_lo
	v_add_co_u32 v13, vcc_lo, v8, 1
	s_wait_alu 0xfffd
	v_add_co_ci_u32_e32 v14, vcc_lo, 0, v9, vcc_lo
	s_delay_alu instid0(VALU_DEP_3) | instskip(SKIP_1) | instid1(VALU_DEP_2)
	v_cmp_ne_u32_e32 vcc_lo, 0, v10
	s_wait_alu 0xfffd
	v_dual_cndmask_b32 v3, v14, v12 :: v_dual_cndmask_b32 v10, v13, v11
	v_cmp_ne_u32_e32 vcc_lo, 0, v2
	s_wait_alu 0xfffd
	s_delay_alu instid0(VALU_DEP_2)
	v_dual_cndmask_b32 v51, v9, v3 :: v_dual_cndmask_b32 v50, v8, v10
.LBB0_4:                                ;   in Loop: Header=BB0_2 Depth=1
	s_wait_alu 0xfffe
	s_and_not1_saveexec_b32 s2, s26
	s_cbranch_execz .LBB0_6
; %bb.5:                                ;   in Loop: Header=BB0_2 Depth=1
	v_cvt_f32_u32_e32 v2, s24
	s_sub_co_i32 s26, 0, s24
	v_mov_b32_e32 v51, v1
	s_delay_alu instid0(VALU_DEP_2) | instskip(NEXT) | instid1(TRANS32_DEP_1)
	v_rcp_iflag_f32_e32 v2, v2
	v_mul_f32_e32 v2, 0x4f7ffffe, v2
	s_delay_alu instid0(VALU_DEP_1) | instskip(SKIP_1) | instid1(VALU_DEP_1)
	v_cvt_u32_f32_e32 v2, v2
	s_wait_alu 0xfffe
	v_mul_lo_u32 v3, s26, v2
	s_delay_alu instid0(VALU_DEP_1) | instskip(NEXT) | instid1(VALU_DEP_1)
	v_mul_hi_u32 v3, v2, v3
	v_add_nc_u32_e32 v2, v2, v3
	s_delay_alu instid0(VALU_DEP_1) | instskip(NEXT) | instid1(VALU_DEP_1)
	v_mul_hi_u32 v2, v6, v2
	v_mul_lo_u32 v3, v2, s24
	v_add_nc_u32_e32 v8, 1, v2
	s_delay_alu instid0(VALU_DEP_2) | instskip(NEXT) | instid1(VALU_DEP_1)
	v_sub_nc_u32_e32 v3, v6, v3
	v_subrev_nc_u32_e32 v9, s24, v3
	v_cmp_le_u32_e32 vcc_lo, s24, v3
	s_wait_alu 0xfffd
	s_delay_alu instid0(VALU_DEP_2) | instskip(NEXT) | instid1(VALU_DEP_1)
	v_dual_cndmask_b32 v3, v3, v9 :: v_dual_cndmask_b32 v2, v2, v8
	v_cmp_le_u32_e32 vcc_lo, s24, v3
	s_delay_alu instid0(VALU_DEP_2) | instskip(SKIP_1) | instid1(VALU_DEP_1)
	v_add_nc_u32_e32 v8, 1, v2
	s_wait_alu 0xfffd
	v_cndmask_b32_e32 v50, v2, v8, vcc_lo
.LBB0_6:                                ;   in Loop: Header=BB0_2 Depth=1
	s_wait_alu 0xfffe
	s_or_b32 exec_lo, exec_lo, s2
	v_mul_lo_u32 v8, v51, s24
	s_delay_alu instid0(VALU_DEP_2)
	v_mul_lo_u32 v9, v50, s25
	s_load_b64 s[26:27], s[18:19], 0x0
	v_mad_co_u64_u32 v[2:3], null, v50, s24, 0
	s_load_b64 s[24:25], s[16:17], 0x0
	s_add_nc_u64 s[20:21], s[20:21], 1
	s_add_nc_u64 s[16:17], s[16:17], 8
	s_wait_alu 0xfffe
	v_cmp_ge_u64_e64 s2, s[20:21], s[10:11]
	s_add_nc_u64 s[18:19], s[18:19], 8
	s_add_nc_u64 s[22:23], s[22:23], 8
	v_add3_u32 v3, v3, v9, v8
	v_sub_co_u32 v2, vcc_lo, v6, v2
	s_wait_alu 0xfffd
	s_delay_alu instid0(VALU_DEP_2) | instskip(SKIP_2) | instid1(VALU_DEP_1)
	v_sub_co_ci_u32_e32 v3, vcc_lo, v7, v3, vcc_lo
	s_and_b32 vcc_lo, exec_lo, s2
	s_wait_kmcnt 0x0
	v_mul_lo_u32 v6, s26, v3
	v_mul_lo_u32 v7, s27, v2
	v_mad_co_u64_u32 v[4:5], null, s26, v2, v[4:5]
	v_mul_lo_u32 v3, s24, v3
	v_mul_lo_u32 v8, s25, v2
	v_mad_co_u64_u32 v[48:49], null, s24, v2, v[48:49]
	s_delay_alu instid0(VALU_DEP_4) | instskip(NEXT) | instid1(VALU_DEP_2)
	v_add3_u32 v5, v7, v5, v6
	v_add3_u32 v49, v8, v49, v3
	s_wait_alu 0xfffe
	s_cbranch_vccnz .LBB0_9
; %bb.7:                                ;   in Loop: Header=BB0_2 Depth=1
	v_dual_mov_b32 v6, v50 :: v_dual_mov_b32 v7, v51
	s_branch .LBB0_2
.LBB0_8:
	v_dual_mov_b32 v49, v5 :: v_dual_mov_b32 v48, v4
	v_dual_mov_b32 v51, v7 :: v_dual_mov_b32 v50, v6
.LBB0_9:
	s_load_b64 s[0:1], s[0:1], 0x28
	v_mul_hi_u32 v1, 0x10db20b, v0
	s_lshl_b64 s[2:3], s[10:11], 3
                                        ; implicit-def: $vgpr52
	s_wait_kmcnt 0x0
	v_cmp_gt_u64_e32 vcc_lo, s[0:1], v[50:51]
	v_cmp_le_u64_e64 s0, s[0:1], v[50:51]
	s_delay_alu instid0(VALU_DEP_1)
	s_and_saveexec_b32 s1, s0
	s_wait_alu 0xfffe
	s_xor_b32 s0, exec_lo, s1
; %bb.10:
	v_mul_u32_u24_e32 v1, 0xf3, v1
                                        ; implicit-def: $vgpr4_vgpr5
	s_delay_alu instid0(VALU_DEP_1)
	v_sub_nc_u32_e32 v52, v0, v1
                                        ; implicit-def: $vgpr1
                                        ; implicit-def: $vgpr0
; %bb.11:
	s_wait_alu 0xfffe
	s_or_saveexec_b32 s1, s0
	s_add_nc_u64 s[10:11], s[14:15], s[2:3]
                                        ; implicit-def: $vgpr14_vgpr15
                                        ; implicit-def: $vgpr6_vgpr7
                                        ; implicit-def: $vgpr38_vgpr39
                                        ; implicit-def: $vgpr34_vgpr35
                                        ; implicit-def: $vgpr26_vgpr27
                                        ; implicit-def: $vgpr22_vgpr23
                                        ; implicit-def: $vgpr10_vgpr11
                                        ; implicit-def: $vgpr2_vgpr3
                                        ; implicit-def: $vgpr46_vgpr47
                                        ; implicit-def: $vgpr30_vgpr31
                                        ; implicit-def: $vgpr42_vgpr43
                                        ; implicit-def: $vgpr18_vgpr19
	s_wait_alu 0xfffe
	s_xor_b32 exec_lo, exec_lo, s1
	s_cbranch_execz .LBB0_13
; %bb.12:
	s_add_nc_u64 s[2:3], s[12:13], s[2:3]
	s_load_b64 s[2:3], s[2:3], 0x0
	s_wait_kmcnt 0x0
	v_mul_lo_u32 v6, s3, v50
	v_mul_lo_u32 v7, s2, v51
	v_mad_co_u64_u32 v[2:3], null, s2, v50, 0
	s_delay_alu instid0(VALU_DEP_1) | instskip(SKIP_1) | instid1(VALU_DEP_2)
	v_add3_u32 v3, v3, v7, v6
	v_mul_u32_u24_e32 v6, 0xf3, v1
	v_lshlrev_b64_e32 v[1:2], 4, v[2:3]
	v_lshlrev_b64_e32 v[3:4], 4, v[4:5]
	s_delay_alu instid0(VALU_DEP_3) | instskip(NEXT) | instid1(VALU_DEP_3)
	v_sub_nc_u32_e32 v52, v0, v6
	v_add_co_u32 v0, s0, s4, v1
	s_wait_alu 0xf1ff
	s_delay_alu instid0(VALU_DEP_4) | instskip(NEXT) | instid1(VALU_DEP_3)
	v_add_co_ci_u32_e64 v1, s0, s5, v2, s0
	v_lshlrev_b32_e32 v2, 4, v52
	s_delay_alu instid0(VALU_DEP_3) | instskip(SKIP_1) | instid1(VALU_DEP_3)
	v_add_co_u32 v0, s0, v0, v3
	s_wait_alu 0xf1ff
	v_add_co_ci_u32_e64 v1, s0, v1, v4, s0
	s_delay_alu instid0(VALU_DEP_2) | instskip(SKIP_1) | instid1(VALU_DEP_2)
	v_add_co_u32 v12, s0, v0, v2
	s_wait_alu 0xf1ff
	v_add_co_ci_u32_e64 v13, s0, 0, v1, s0
	s_clause 0xb
	global_load_b128 v[16:19], v[12:13], off
	global_load_b128 v[20:23], v[12:13], off offset:3888
	global_load_b128 v[40:43], v[12:13], off offset:7776
	global_load_b128 v[24:27], v[12:13], off offset:11664
	global_load_b128 v[28:31], v[12:13], off offset:15552
	global_load_b128 v[32:35], v[12:13], off offset:19440
	global_load_b128 v[44:47], v[12:13], off offset:23328
	global_load_b128 v[36:39], v[12:13], off offset:27216
	global_load_b128 v[0:3], v[12:13], off offset:31104
	global_load_b128 v[4:7], v[12:13], off offset:34992
	global_load_b128 v[8:11], v[12:13], off offset:38880
	global_load_b128 v[12:15], v[12:13], off offset:42768
.LBB0_13:
	s_or_b32 exec_lo, exec_lo, s1
	s_wait_loadcnt 0x1
	v_add_f64_e32 v[53:54], v[8:9], v[44:45]
	s_wait_loadcnt 0x0
	v_add_f64_e32 v[55:56], v[12:13], v[36:37]
	v_add_f64_e32 v[57:58], v[10:11], v[46:47]
	;; [unrolled: 1-line block ×3, first 2 shown]
	v_add_f64_e64 v[61:62], v[46:47], -v[10:11]
	v_add_f64_e64 v[63:64], v[38:39], -v[14:15]
	;; [unrolled: 1-line block ×4, first 2 shown]
	s_mov_b32 s2, 0xe8584caa
	s_mov_b32 s3, 0x3febb67a
	s_mov_b32 s5, 0xbfebb67a
	s_wait_alu 0xfffe
	s_mov_b32 s4, s2
	v_add_f64_e32 v[69:70], v[0:1], v[28:29]
	v_add_f64_e32 v[77:78], v[6:7], v[34:35]
	;; [unrolled: 1-line block ×3, first 2 shown]
	v_add_f64_e64 v[83:84], v[30:31], -v[2:3]
	v_add_f64_e64 v[28:29], v[28:29], -v[0:1]
	s_load_b64 s[10:11], s[10:11], 0x0
	v_cmp_gt_u32_e64 s0, 0x51, v52
	v_fma_f64 v[53:54], v[53:54], -0.5, v[40:41]
	v_fma_f64 v[55:56], v[55:56], -0.5, v[24:25]
	;; [unrolled: 1-line block ×4, first 2 shown]
	v_add_f64_e32 v[40:41], v[44:45], v[40:41]
	v_add_f64_e32 v[42:43], v[46:47], v[42:43]
	;; [unrolled: 1-line block ×5, first 2 shown]
	v_add_f64_e64 v[46:47], v[34:35], -v[6:7]
	v_add_f64_e32 v[34:35], v[34:35], v[22:23]
	v_fma_f64 v[16:17], v[69:70], -0.5, v[16:17]
	v_fma_f64 v[22:23], v[77:78], -0.5, v[22:23]
	v_fma_f64 v[71:72], v[61:62], s[2:3], v[53:54]
	v_fma_f64 v[53:54], v[61:62], s[4:5], v[53:54]
	;; [unrolled: 1-line block ×4, first 2 shown]
	v_add_f64_e32 v[63:64], v[2:3], v[30:31]
	v_fma_f64 v[75:76], v[65:66], s[2:3], v[57:58]
	v_add_f64_e32 v[61:62], v[4:5], v[32:33]
	v_fma_f64 v[79:80], v[67:68], s[2:3], v[59:60]
	v_fma_f64 v[36:37], v[65:66], s[4:5], v[57:58]
	;; [unrolled: 1-line block ×3, first 2 shown]
	v_add_f64_e32 v[30:31], v[30:31], v[18:19]
	v_add_f64_e64 v[32:33], v[32:33], -v[4:5]
	v_add_f64_e32 v[8:9], v[8:9], v[40:41]
	v_add_f64_e32 v[4:5], v[4:5], v[44:45]
	v_fma_f64 v[40:41], v[83:84], s[2:3], v[16:17]
	v_fma_f64 v[16:17], v[83:84], s[4:5], v[16:17]
	v_add_f64_e32 v[26:27], v[14:15], v[26:27]
	v_add_f64_e32 v[24:25], v[12:13], v[24:25]
	v_mul_f64_e32 v[57:58], 0.5, v[71:72]
	v_mul_f64_e32 v[65:66], -0.5, v[53:54]
	v_mul_f64_e32 v[38:39], s[4:5], v[71:72]
	v_mul_f64_e32 v[67:68], -0.5, v[55:56]
	v_fma_f64 v[18:19], v[63:64], -0.5, v[18:19]
	v_mul_f64_e32 v[63:64], -0.5, v[75:76]
	v_fma_f64 v[20:21], v[61:62], -0.5, v[20:21]
	v_mul_f64_e32 v[61:62], 0.5, v[73:74]
	v_mul_f64_e32 v[69:70], s[4:5], v[73:74]
	v_mul_f64_e32 v[71:72], -0.5, v[79:80]
	v_add_f64_e32 v[73:74], v[0:1], v[81:82]
	v_add_f64_e32 v[2:3], v[2:3], v[30:31]
	;; [unrolled: 1-line block ×4, first 2 shown]
	v_fma_f64 v[81:82], v[32:33], s[4:5], v[22:23]
	v_fma_f64 v[83:84], v[32:33], s[2:3], v[22:23]
	v_and_b32_e32 v0, 0xff, v52
	v_add_f64_e32 v[14:15], v[24:25], v[4:5]
	v_add_nc_u32_e32 v33, 0xf3, v52
	s_delay_alu instid0(VALU_DEP_3) | instskip(NEXT) | instid1(VALU_DEP_1)
	v_mul_lo_u16 v1, 0xab, v0
	v_lshrrev_b16 v1, 10, v1
	v_fma_f64 v[44:45], v[36:37], s[2:3], v[57:58]
	v_fma_f64 v[57:58], v[75:76], s[2:3], v[65:66]
	;; [unrolled: 1-line block ×4, first 2 shown]
	v_fma_f64 v[79:80], v[36:37], 0.5, v[38:39]
	v_fma_f64 v[77:78], v[28:29], s[2:3], v[18:19]
	v_fma_f64 v[63:64], v[53:54], s[4:5], v[63:64]
	;; [unrolled: 1-line block ×4, first 2 shown]
	v_fma_f64 v[69:70], v[59:60], 0.5, v[69:70]
	v_fma_f64 v[46:47], v[46:47], s[4:5], v[20:21]
	v_fma_f64 v[71:72], v[55:56], s[4:5], v[71:72]
	v_add_f64_e32 v[6:7], v[8:9], v[73:74]
	v_add_f64_e64 v[12:13], v[73:74], -v[8:9]
	v_add_f64_e32 v[38:39], v[30:31], v[2:3]
	v_add_f64_e32 v[53:54], v[26:27], v[42:43]
	v_add_f64_e64 v[59:60], v[42:43], -v[26:27]
	v_add_f64_e64 v[20:21], v[4:5], -v[24:25]
	v_mul_lo_u16 v5, v1, 6
	v_and_b32_e32 v4, 0xffff, v33
	v_mul_u32_u24_e32 v28, 6, v52
	v_and_b32_e32 v1, 0xffff, v1
	s_delay_alu instid0(VALU_DEP_4) | instskip(NEXT) | instid1(VALU_DEP_2)
	v_sub_nc_u16 v5, v52, v5
	v_mul_u32_u24_e32 v1, 0x120, v1
	v_add_f64_e32 v[8:9], v[40:41], v[44:45]
	v_add_f64_e64 v[22:23], v[40:41], -v[44:45]
	v_add_f64_e32 v[10:11], v[16:17], v[57:58]
	v_add_f64_e64 v[44:45], v[2:3], -v[30:31]
	v_add_f64_e64 v[24:25], v[16:17], -v[57:58]
	v_add_f64_e32 v[40:41], v[75:76], v[79:80]
	v_mul_u32_u24_e32 v3, 0xaaab, v4
	v_add_f64_e32 v[42:43], v[77:78], v[63:64]
	v_add_f64_e64 v[63:64], v[77:78], -v[63:64]
	v_add_f64_e32 v[16:17], v[65:66], v[61:62]
	v_add_f64_e64 v[34:35], v[65:66], -v[61:62]
	v_add_f64_e64 v[61:62], v[75:76], -v[79:80]
	v_add_f64_e32 v[55:56], v[81:82], v[69:70]
	v_add_f64_e32 v[18:19], v[46:47], v[67:68]
	;; [unrolled: 1-line block ×3, first 2 shown]
	v_add_f64_e64 v[36:37], v[46:47], -v[67:68]
	v_add_f64_e64 v[65:66], v[81:82], -v[69:70]
	;; [unrolled: 1-line block ×3, first 2 shown]
	v_and_b32_e32 v2, 0xff, v5
	v_lshl_add_u32 v46, v28, 3, 0
	v_lshrrev_b32_e32 v5, 18, v3
	v_mul_u32_u24_e32 v4, 0xe38f, v4
	ds_store_b128 v46, v[6:9]
	ds_store_b128 v46, v[10:13] offset:16
	ds_store_b128 v46, v[22:25] offset:32
	ds_store_b128 v46, v[14:17] offset:11664
	ds_store_b128 v46, v[18:21] offset:11680
	ds_store_b128 v46, v[34:37] offset:11696
	v_mul_u32_u24_e32 v3, 5, v2
	v_mad_i32_i24 v28, 0xffffffd8, v52, v46
	global_wb scope:SCOPE_SE
	s_wait_dscnt 0x0
	s_wait_kmcnt 0x0
	s_barrier_signal -1
	s_barrier_wait -1
	v_lshlrev_b32_e32 v3, 4, v3
	v_add_nc_u32_e32 v27, 0xf00, v28
	v_add_nc_u32_e32 v32, 0x1e00, v28
	;; [unrolled: 1-line block ×5, first 2 shown]
	global_inv scope:SCOPE_SE
	ds_load_2addr_b64 v[7:10], v28 offset1:243
	ds_load_2addr_b64 v[11:14], v27 offset0:6 offset1:249
	ds_load_2addr_b64 v[15:18], v32 offset0:12 offset1:255
	;; [unrolled: 1-line block ×5, first 2 shown]
	global_wb scope:SCOPE_SE
	s_wait_dscnt 0x0
	s_barrier_signal -1
	s_barrier_wait -1
	global_inv scope:SCOPE_SE
	ds_store_b128 v46, v[38:41]
	ds_store_b128 v46, v[42:45] offset:16
	ds_store_b128 v46, v[61:64] offset:32
	;; [unrolled: 1-line block ×5, first 2 shown]
	global_wb scope:SCOPE_SE
	s_wait_dscnt 0x0
	s_barrier_signal -1
	s_barrier_wait -1
	global_inv scope:SCOPE_SE
	global_load_b128 v[38:41], v3, s[8:9] offset:32
	v_mul_lo_u16 v47, v5, 6
	v_lshlrev_b32_e32 v2, 3, v2
	v_mul_u32_u24_e32 v5, 0x120, v5
	s_delay_alu instid0(VALU_DEP_3) | instskip(NEXT) | instid1(VALU_DEP_3)
	v_sub_nc_u16 v6, v33, v47
	v_add3_u32 v1, 0, v1, v2
	s_delay_alu instid0(VALU_DEP_2) | instskip(NEXT) | instid1(VALU_DEP_1)
	v_and_b32_e32 v6, 0xffff, v6
	v_mul_u32_u24_e32 v42, 5, v6
	v_lshlrev_b32_e32 v6, 3, v6
	s_delay_alu instid0(VALU_DEP_2)
	v_lshlrev_b32_e32 v46, 4, v42
	s_clause 0x8
	global_load_b128 v[42:45], v46, s[8:9] offset:32
	global_load_b128 v[53:56], v3, s[8:9] offset:64
	;; [unrolled: 1-line block ×3, first 2 shown]
	global_load_b128 v[61:64], v3, s[8:9]
	global_load_b128 v[65:68], v46, s[8:9]
	global_load_b128 v[69:72], v3, s[8:9] offset:16
	global_load_b128 v[73:76], v3, s[8:9] offset:48
	;; [unrolled: 1-line block ×4, first 2 shown]
	ds_load_2addr_b64 v[85:88], v29 offset0:2 offset1:245
	v_mul_lo_u16 v3, v0, 57
	v_add3_u32 v2, 0, v5, v6
	v_mul_lo_u16 v0, v0, 19
	s_delay_alu instid0(VALU_DEP_3) | instskip(NEXT) | instid1(VALU_DEP_2)
	v_lshrrev_b16 v3, 11, v3
	v_lshrrev_b16 v0, 11, v0
	s_wait_loadcnt_dscnt 0x900
	v_mul_f64_e32 v[46:47], v[85:86], v[40:41]
	v_mul_f64_e32 v[40:41], v[19:20], v[40:41]
	s_wait_loadcnt 0x8
	v_mul_f64_e32 v[89:90], v[87:88], v[44:45]
	v_mul_f64_e32 v[44:45], v[21:22], v[44:45]
	s_delay_alu instid0(VALU_DEP_4) | instskip(NEXT) | instid1(VALU_DEP_4)
	v_fma_f64 v[46:47], v[19:20], v[38:39], -v[46:47]
	v_fma_f64 v[85:86], v[85:86], v[38:39], v[40:41]
	ds_load_2addr_b64 v[38:41], v30 offset0:6 offset1:249
	v_fma_f64 v[89:90], v[21:22], v[42:43], -v[89:90]
	ds_load_2addr_b64 v[19:22], v27 offset0:6 offset1:249
	v_fma_f64 v[42:43], v[87:88], v[42:43], v[44:45]
	s_wait_loadcnt 0x6
	v_mul_f64_e32 v[44:45], v[36:37], v[59:60]
	s_wait_dscnt 0x1
	v_mul_f64_e32 v[91:92], v[38:39], v[55:56]
	v_mul_f64_e32 v[55:56], v[34:35], v[55:56]
	;; [unrolled: 1-line block ×3, first 2 shown]
	v_mul_lo_u16 v27, v3, 36
	s_wait_loadcnt_dscnt 0x500
	v_mul_f64_e32 v[59:60], v[19:20], v[63:64]
	v_fma_f64 v[44:45], v[40:41], v[57:58], v[44:45]
	v_fma_f64 v[87:88], v[34:35], v[53:54], -v[91:92]
	v_fma_f64 v[53:54], v[38:39], v[53:54], v[55:56]
	v_mul_f64_e32 v[55:56], v[11:12], v[63:64]
	s_wait_loadcnt 0x4
	v_mul_f64_e32 v[91:92], v[21:22], v[67:68]
	v_fma_f64 v[63:64], v[36:37], v[57:58], -v[93:94]
	ds_load_2addr_b64 v[34:37], v32 offset0:12 offset1:255
	v_mul_f64_e32 v[57:58], v[13:14], v[67:68]
	ds_load_2addr_b64 v[38:41], v31 offset0:8 offset1:251
	v_fma_f64 v[59:60], v[11:12], v[61:62], -v[59:60]
	s_wait_loadcnt 0x3
	v_mul_f64_e32 v[11:12], v[15:16], v[71:72]
	s_wait_dscnt 0x1
	v_mul_f64_e32 v[67:68], v[34:35], v[71:72]
	s_wait_loadcnt 0x1
	v_mul_f64_e32 v[71:72], v[36:37], v[79:80]
	v_fma_f64 v[19:20], v[19:20], v[61:62], v[55:56]
	v_fma_f64 v[61:62], v[13:14], v[65:66], -v[91:92]
	v_mul_f64_e32 v[13:14], v[23:24], v[75:76]
	s_wait_dscnt 0x0
	v_mul_f64_e32 v[55:56], v[38:39], v[75:76]
	v_fma_f64 v[21:22], v[21:22], v[65:66], v[57:58]
	s_wait_loadcnt 0x0
	v_mul_f64_e32 v[57:58], v[40:41], v[83:84]
	v_add_f64_e32 v[65:66], v[85:86], v[53:54]
	v_add_f64_e32 v[75:76], v[46:47], v[87:88]
	v_fma_f64 v[34:35], v[34:35], v[69:70], v[11:12]
	v_add_f64_e32 v[11:12], v[42:43], v[44:45]
	v_fma_f64 v[15:16], v[15:16], v[69:70], -v[67:68]
	v_add_f64_e32 v[67:68], v[89:90], v[63:64]
	v_mul_f64_e32 v[69:70], v[17:18], v[79:80]
	v_fma_f64 v[17:18], v[17:18], v[77:78], -v[71:72]
	v_fma_f64 v[38:39], v[38:39], v[73:74], v[13:14]
	v_mul_f64_e32 v[13:14], v[25:26], v[83:84]
	v_fma_f64 v[23:24], v[23:24], v[73:74], -v[55:56]
	v_fma_f64 v[25:26], v[25:26], v[81:82], -v[57:58]
	v_add_f64_e64 v[55:56], v[85:86], -v[53:54]
	v_add_f64_e64 v[57:58], v[46:47], -v[87:88]
	v_fma_f64 v[65:66], v[65:66], -0.5, v[19:20]
	v_fma_f64 v[71:72], v[75:76], -0.5, v[59:60]
	v_add_f64_e64 v[75:76], v[89:90], -v[63:64]
	v_add_f64_e64 v[73:74], v[42:43], -v[44:45]
	v_add_f64_e32 v[46:47], v[59:60], v[46:47]
	v_add_f64_e32 v[59:60], v[61:62], v[89:90]
	;; [unrolled: 1-line block ×3, first 2 shown]
	v_fma_f64 v[11:12], v[11:12], -0.5, v[21:22]
	v_add_f64_e32 v[21:22], v[21:22], v[42:43]
	v_fma_f64 v[67:68], v[67:68], -0.5, v[61:62]
	v_fma_f64 v[36:37], v[36:37], v[77:78], v[69:70]
	v_add_f64_e32 v[61:62], v[9:10], v[17:18]
	v_add_f64_e32 v[93:94], v[34:35], v[38:39]
	v_fma_f64 v[40:41], v[40:41], v[81:82], v[13:14]
	v_add_f64_e32 v[69:70], v[15:16], v[23:24]
	v_add_f64_e32 v[77:78], v[17:18], v[25:26]
	v_add_f64_e64 v[17:18], v[17:18], -v[25:26]
	v_fma_f64 v[79:80], v[57:58], s[4:5], v[65:66]
	v_fma_f64 v[81:82], v[55:56], s[4:5], v[71:72]
	;; [unrolled: 1-line block ×4, first 2 shown]
	v_add_f64_e32 v[65:66], v[7:8], v[15:16]
	v_add_f64_e64 v[15:16], v[15:16], -v[23:24]
	v_add_f64_e32 v[46:47], v[46:47], v[87:88]
	v_add_f64_e32 v[59:60], v[59:60], v[63:64]
	v_add_f64_e32 v[19:20], v[19:20], v[53:54]
	v_fma_f64 v[83:84], v[75:76], s[4:5], v[11:12]
	v_fma_f64 v[71:72], v[75:76], s[2:3], v[11:12]
	ds_load_2addr_b64 v[11:14], v28 offset1:243
	v_add_f64_e32 v[21:22], v[21:22], v[44:45]
	global_wb scope:SCOPE_SE
	s_wait_dscnt 0x0
	s_barrier_signal -1
	s_barrier_wait -1
	v_fma_f64 v[91:92], v[73:74], s[4:5], v[67:68]
	v_fma_f64 v[67:68], v[73:74], s[2:3], v[67:68]
	v_add_f64_e64 v[73:74], v[34:35], -v[38:39]
	v_add_f64_e32 v[25:26], v[61:62], v[25:26]
	global_inv scope:SCOPE_SE
	v_add_f64_e32 v[34:35], v[11:12], v[34:35]
	v_fma_f64 v[11:12], v[93:94], -0.5, v[11:12]
	v_add_f64_e32 v[95:96], v[36:37], v[40:41]
	v_fma_f64 v[7:8], v[69:70], -0.5, v[7:8]
	v_fma_f64 v[9:10], v[77:78], -0.5, v[9:10]
	v_add_f64_e64 v[77:78], v[36:37], -v[40:41]
	v_add_f64_e32 v[36:37], v[13:14], v[36:37]
	v_mul_f64_e32 v[69:70], s[2:3], v[79:80]
	v_mul_f64_e32 v[75:76], -0.5, v[81:82]
	v_mul_f64_e32 v[42:43], s[4:5], v[55:56]
	v_mul_f64_e32 v[93:94], -0.5, v[57:58]
	v_add_f64_e32 v[23:24], v[65:66], v[23:24]
	v_mul_f64_e32 v[85:86], s[2:3], v[83:84]
	v_mul_f64_e32 v[89:90], -0.5, v[91:92]
	v_mul_f64_e32 v[65:66], s[4:5], v[67:68]
	v_add_f64_e32 v[34:35], v[34:35], v[38:39]
	v_fma_f64 v[38:39], v[15:16], s[4:5], v[11:12]
	v_fma_f64 v[13:14], v[95:96], -0.5, v[13:14]
	v_mul_f64_e32 v[95:96], -0.5, v[71:72]
	v_fma_f64 v[61:62], v[73:74], s[2:3], v[7:8]
	v_fma_f64 v[63:64], v[77:78], s[2:3], v[9:10]
	;; [unrolled: 1-line block ×3, first 2 shown]
	v_fma_f64 v[55:56], v[55:56], 0.5, v[69:70]
	v_fma_f64 v[7:8], v[73:74], s[4:5], v[7:8]
	v_fma_f64 v[15:16], v[79:80], 0.5, v[42:43]
	v_fma_f64 v[57:58], v[57:58], s[2:3], v[75:76]
	v_fma_f64 v[9:10], v[77:78], s[4:5], v[9:10]
	v_add_f64_e32 v[36:37], v[36:37], v[40:41]
	v_fma_f64 v[40:41], v[81:82], s[4:5], v[93:94]
	v_add_f64_e32 v[53:54], v[23:24], v[46:47]
	v_add_f64_e64 v[23:24], v[23:24], -v[46:47]
	v_fma_f64 v[67:68], v[67:68], 0.5, v[85:86]
	v_add_f64_e32 v[46:47], v[25:26], v[59:60]
	v_add_f64_e64 v[25:26], v[25:26], -v[59:60]
	v_fma_f64 v[69:70], v[71:72], s[2:3], v[89:90]
	v_fma_f64 v[42:43], v[17:18], s[4:5], v[13:14]
	;; [unrolled: 1-line block ×3, first 2 shown]
	v_fma_f64 v[17:18], v[83:84], 0.5, v[65:66]
	v_fma_f64 v[44:45], v[91:92], s[4:5], v[95:96]
	v_and_b32_e32 v96, 0xffff, v3
	v_add_f64_e32 v[59:60], v[61:62], v[55:56]
	v_add_f64_e64 v[55:56], v[61:62], -v[55:56]
	v_add_f64_e32 v[75:76], v[38:39], v[15:16]
	v_add_f64_e32 v[65:66], v[7:8], v[57:58]
	v_add_f64_e64 v[57:58], v[7:8], -v[57:58]
	v_add_f64_e32 v[73:74], v[36:37], v[21:22]
	v_add_f64_e32 v[77:78], v[11:12], v[40:41]
	v_lshrrev_b32_e32 v7, 21, v4
	v_add_f64_e32 v[61:62], v[63:64], v[67:68]
	v_add_f64_e64 v[63:64], v[63:64], -v[67:68]
	v_add_f64_e32 v[67:68], v[34:35], v[19:20]
	s_delay_alu instid0(VALU_DEP_4)
	v_mul_lo_u16 v83, v7, 36
	v_add_f64_e32 v[71:72], v[9:10], v[69:70]
	v_add_f64_e64 v[8:9], v[9:10], -v[69:70]
	v_add_f64_e64 v[69:70], v[34:35], -v[19:20]
	v_add_f64_e64 v[35:36], v[36:37], -v[21:22]
	v_add_f64_e64 v[37:38], v[38:39], -v[15:16]
	v_add_f64_e64 v[39:40], v[11:12], -v[40:41]
	v_sub_nc_u16 v10, v52, v27
	v_lshl_add_u32 v34, v52, 3, 0
	ds_store_2addr_b64 v1, v[53:54], v[59:60] offset1:6
	ds_store_2addr_b64 v1, v[65:66], v[23:24] offset0:12 offset1:18
	ds_store_2addr_b64 v1, v[55:56], v[57:58] offset0:24 offset1:30
	ds_store_2addr_b64 v2, v[46:47], v[61:62] offset1:6
	ds_store_2addr_b64 v2, v[71:72], v[25:26] offset0:12 offset1:18
	ds_store_2addr_b64 v2, v[63:64], v[8:9] offset0:24 offset1:30
	v_add_f64_e32 v[79:80], v[42:43], v[17:18]
	v_add_f64_e32 v[81:82], v[13:14], v[44:45]
	v_add_f64_e64 v[41:42], v[42:43], -v[17:18]
	v_add_f64_e64 v[43:44], v[13:14], -v[44:45]
	v_and_b32_e32 v4, 0xff, v10
	global_wb scope:SCOPE_SE
	s_wait_dscnt 0x0
	s_barrier_signal -1
	s_barrier_wait -1
	global_inv scope:SCOPE_SE
	v_lshlrev_b32_e32 v84, 5, v4
	ds_load_2addr_b64 v[8:11], v28 offset1:243
	ds_load_2addr_b64 v[12:15], v32 offset0:12 offset1:255
	ds_load_2addr_b64 v[16:19], v31 offset0:8 offset1:251
	;; [unrolled: 1-line block ×4, first 2 shown]
	ds_load_b64 v[45:46], v28 offset:3888
	ds_load_b64 v[85:86], v34 offset:5832
	global_wb scope:SCOPE_SE
	s_wait_dscnt 0x0
	s_barrier_signal -1
	s_barrier_wait -1
	global_inv scope:SCOPE_SE
	ds_store_2addr_b64 v1, v[67:68], v[75:76] offset1:6
	ds_store_2addr_b64 v1, v[77:78], v[69:70] offset0:12 offset1:18
	ds_store_2addr_b64 v1, v[37:38], v[39:40] offset0:24 offset1:30
	ds_store_2addr_b64 v2, v[73:74], v[79:80] offset1:6
	ds_store_2addr_b64 v2, v[81:82], v[35:36] offset0:12 offset1:18
	ds_store_2addr_b64 v2, v[41:42], v[43:44] offset0:24 offset1:30
	global_wb scope:SCOPE_SE
	s_wait_dscnt 0x0
	s_barrier_signal -1
	s_barrier_wait -1
	global_inv scope:SCOPE_SE
	global_load_b128 v[37:40], v84, s[8:9] offset:480
	v_sub_nc_u16 v1, v33, v83
	v_add_nc_u32_e32 v35, 0x1e6, v52
	v_add_nc_u32_e32 v36, 0x2d9, v52
	v_lshlrev_b32_e32 v4, 3, v4
	s_delay_alu instid0(VALU_DEP_4) | instskip(NEXT) | instid1(VALU_DEP_3)
	v_and_b32_e32 v6, 0xffff, v1
	v_and_b32_e32 v2, 0xffff, v36
	s_delay_alu instid0(VALU_DEP_2)
	v_lshlrev_b32_e32 v1, 5, v6
	s_clause 0x2
	global_load_b128 v[41:44], v1, s[8:9] offset:480
	global_load_b128 v[53:56], v84, s[8:9] offset:496
	global_load_b128 v[57:60], v1, s[8:9] offset:496
	v_and_b32_e32 v1, 0xffff, v35
	v_mul_u32_u24_e32 v47, 0xe38f, v2
	v_lshlrev_b32_e32 v6, 3, v6
	s_delay_alu instid0(VALU_DEP_3) | instskip(NEXT) | instid1(VALU_DEP_3)
	v_mul_u32_u24_e32 v5, 0xe38f, v1
	v_lshrrev_b32_e32 v47, 21, v47
	s_delay_alu instid0(VALU_DEP_2) | instskip(NEXT) | instid1(VALU_DEP_2)
	v_lshrrev_b32_e32 v93, 21, v5
	v_mul_lo_u16 v61, v47, 36
	v_mul_u32_u24_e32 v47, 0x360, v47
	s_delay_alu instid0(VALU_DEP_3) | instskip(NEXT) | instid1(VALU_DEP_3)
	v_mul_lo_u16 v5, v93, 36
	v_sub_nc_u16 v61, v36, v61
	s_delay_alu instid0(VALU_DEP_2) | instskip(NEXT) | instid1(VALU_DEP_2)
	v_sub_nc_u16 v5, v35, v5
	v_and_b32_e32 v95, 0xffff, v61
	s_delay_alu instid0(VALU_DEP_2) | instskip(NEXT) | instid1(VALU_DEP_2)
	v_and_b32_e32 v94, 0xffff, v5
	v_lshlrev_b32_e32 v73, 5, v95
	s_delay_alu instid0(VALU_DEP_2)
	v_lshlrev_b32_e32 v5, 5, v94
	s_clause 0x3
	global_load_b128 v[61:64], v5, s[8:9] offset:480
	global_load_b128 v[65:68], v73, s[8:9] offset:480
	;; [unrolled: 1-line block ×4, first 2 shown]
	ds_load_2addr_b64 v[77:80], v32 offset0:12 offset1:255
	ds_load_2addr_b64 v[81:84], v31 offset0:8 offset1:251
	v_lshrrev_b16 v5, 2, v33
	s_delay_alu instid0(VALU_DEP_1) | instskip(NEXT) | instid1(VALU_DEP_1)
	v_and_b32_e32 v5, 0xffff, v5
	v_mul_u32_u24_e32 v3, 0x4bdb, v5
	s_delay_alu instid0(VALU_DEP_1)
	v_lshrrev_b32_e32 v3, 19, v3
	s_wait_loadcnt_dscnt 0x701
	v_mul_f64_e32 v[87:88], v[77:78], v[39:40]
	v_mul_f64_e32 v[39:40], v[12:13], v[39:40]
	s_wait_loadcnt 0x6
	v_mul_f64_e32 v[89:90], v[79:80], v[43:44]
	s_delay_alu instid0(VALU_DEP_3) | instskip(SKIP_1) | instid1(VALU_DEP_4)
	v_fma_f64 v[87:88], v[12:13], v[37:38], -v[87:88]
	v_mul_f64_e32 v[12:13], v[14:15], v[43:44]
	v_fma_f64 v[77:78], v[77:78], v[37:38], v[39:40]
	s_wait_loadcnt_dscnt 0x500
	v_mul_f64_e32 v[37:38], v[81:82], v[55:56]
	v_mul_f64_e32 v[39:40], v[16:17], v[55:56]
	s_wait_loadcnt 0x4
	v_mul_f64_e32 v[55:56], v[83:84], v[59:60]
	v_mul_f64_e32 v[59:60], v[18:19], v[59:60]
	v_fma_f64 v[43:44], v[14:15], v[41:42], -v[89:90]
	v_fma_f64 v[41:42], v[79:80], v[41:42], v[12:13]
	ds_load_2addr_b64 v[12:15], v29 offset0:2 offset1:245
	v_fma_f64 v[16:17], v[16:17], v[53:54], -v[37:38]
	v_fma_f64 v[53:54], v[81:82], v[53:54], v[39:40]
	v_fma_f64 v[18:19], v[18:19], v[57:58], -v[55:56]
	ds_load_2addr_b64 v[37:40], v30 offset0:6 offset1:249
	v_fma_f64 v[57:58], v[83:84], v[57:58], v[59:60]
	v_add_f64_e32 v[83:84], v[8:9], v[87:88]
	v_add_f64_e32 v[89:90], v[10:11], v[43:44]
	s_wait_loadcnt_dscnt 0x201
	v_mul_f64_e32 v[55:56], v[14:15], v[67:68]
	v_mul_f64_e32 v[79:80], v[12:13], v[63:64]
	;; [unrolled: 1-line block ×4, first 2 shown]
	s_wait_loadcnt_dscnt 0x0
	v_mul_f64_e32 v[59:60], v[39:40], v[75:76]
	v_mul_f64_e32 v[81:82], v[37:38], v[71:72]
	;; [unrolled: 1-line block ×3, first 2 shown]
	v_fma_f64 v[22:23], v[22:23], v[65:66], -v[55:56]
	v_mul_f64_e32 v[55:56], v[26:27], v[75:76]
	v_fma_f64 v[20:21], v[20:21], v[61:62], -v[79:80]
	v_fma_f64 v[26:27], v[26:27], v[73:74], -v[59:60]
	v_fma_f64 v[24:25], v[24:25], v[69:70], -v[81:82]
	v_fma_f64 v[59:60], v[12:13], v[61:62], v[63:64]
	v_fma_f64 v[37:38], v[37:38], v[69:70], v[71:72]
	;; [unrolled: 1-line block ×3, first 2 shown]
	v_add_f64_e32 v[63:64], v[43:44], v[18:19]
	v_add_f64_e32 v[65:66], v[77:78], v[53:54]
	;; [unrolled: 1-line block ×3, first 2 shown]
	ds_load_2addr_b64 v[12:15], v28 offset1:243
	v_add_f64_e64 v[43:44], v[43:44], -v[18:19]
	v_add_f64_e32 v[18:19], v[89:90], v[18:19]
	s_wait_dscnt 0x0
	v_add_f64_e32 v[91:92], v[12:13], v[77:78]
	v_add_f64_e64 v[77:78], v[77:78], -v[53:54]
	v_fma_f64 v[39:40], v[39:40], v[73:74], v[55:56]
	v_add_f64_e32 v[55:56], v[87:88], v[16:17]
	ds_load_b64 v[73:74], v28 offset:3888
	ds_load_b64 v[75:76], v34 offset:5832
	v_add_f64_e32 v[71:72], v[22:23], v[26:27]
	v_add_f64_e32 v[69:70], v[20:21], v[24:25]
	global_wb scope:SCOPE_SE
	s_wait_dscnt 0x0
	v_add_f64_e32 v[79:80], v[59:60], v[37:38]
	s_barrier_signal -1
	v_fma_f64 v[10:11], v[63:64], -0.5, v[10:11]
	v_add_f64_e32 v[63:64], v[85:86], v[22:23]
	v_fma_f64 v[12:13], v[65:66], -0.5, v[12:13]
	v_fma_f64 v[65:66], v[67:68], -0.5, v[14:15]
	v_add_f64_e32 v[14:15], v[14:15], v[41:42]
	v_add_f64_e64 v[41:42], v[41:42], -v[57:58]
	v_add_f64_e64 v[67:68], v[59:60], -v[37:38]
	;; [unrolled: 1-line block ×3, first 2 shown]
	s_barrier_wait -1
	global_inv scope:SCOPE_SE
	v_add_f64_e32 v[59:60], v[73:74], v[59:60]
	v_add_f64_e32 v[53:54], v[91:92], v[53:54]
	;; [unrolled: 1-line block ×3, first 2 shown]
	v_fma_f64 v[8:9], v[55:56], -0.5, v[8:9]
	v_add_f64_e32 v[55:56], v[45:46], v[20:21]
	v_fma_f64 v[71:72], v[71:72], -0.5, v[85:86]
	v_mul_lo_u16 v85, 0x6c, v0
	v_fma_f64 v[45:46], v[69:70], -0.5, v[45:46]
	v_add_f64_e64 v[69:70], v[61:62], -v[39:40]
	v_add_f64_e32 v[61:62], v[75:76], v[61:62]
	v_add_f64_e64 v[20:21], v[20:21], -v[24:25]
	v_sub_nc_u16 v5, v52, v85
	v_add_f64_e64 v[85:86], v[87:88], -v[16:17]
	v_fma_f64 v[73:74], v[79:80], -0.5, v[73:74]
	v_mul_u32_u24_e32 v79, 0x360, v96
	v_mul_u32_u24_e32 v80, 0x360, v7
	v_add_f64_e32 v[26:27], v[63:64], v[26:27]
	v_fma_f64 v[63:64], v[41:42], s[2:3], v[10:11]
	v_add_f64_e32 v[16:17], v[83:84], v[16:17]
	v_add3_u32 v79, 0, v79, v4
	v_add_f64_e32 v[57:58], v[14:15], v[57:58]
	v_and_b32_e32 v5, 0xff, v5
	v_lshlrev_b32_e32 v83, 3, v95
	v_add_f64_e32 v[37:38], v[59:60], v[37:38]
	v_add3_u32 v80, 0, v80, v6
	v_and_b32_e32 v0, 0xffff, v0
	s_delay_alu instid0(VALU_DEP_4) | instskip(NEXT) | instid1(VALU_DEP_2)
	v_add3_u32 v47, 0, v47, v83
	v_mul_u32_u24_e32 v0, 0xa20, v0
	v_fma_f64 v[75:76], v[81:82], -0.5, v[75:76]
	v_mul_lo_u16 v81, 0x6c, v3
	v_add_f64_e32 v[24:25], v[55:56], v[24:25]
	v_fma_f64 v[55:56], v[77:78], s[2:3], v[8:9]
	v_fma_f64 v[7:8], v[77:78], s[4:5], v[8:9]
	;; [unrolled: 1-line block ×7, first 2 shown]
	v_sub_nc_u16 v71, v33, v81
	v_fma_f64 v[59:60], v[85:86], s[4:5], v[12:13]
	v_add_f64_e32 v[39:40], v[61:62], v[39:40]
	v_fma_f64 v[61:62], v[85:86], s[2:3], v[12:13]
	v_mul_u32_u24_e32 v11, 0x360, v93
	v_and_b32_e32 v4, 0xffff, v71
	v_fma_f64 v[71:72], v[43:44], s[4:5], v[65:66]
	v_fma_f64 v[43:44], v[43:44], s[2:3], v[65:66]
	;; [unrolled: 1-line block ×4, first 2 shown]
	v_lshlrev_b32_e32 v81, 3, v94
	v_lshlrev_b32_e32 v82, 5, v5
	;; [unrolled: 1-line block ×3, first 2 shown]
	v_mul_u32_u24_e32 v3, 0xa20, v3
	v_lshlrev_b32_e32 v4, 3, v4
	v_add3_u32 v81, 0, v11, v81
	ds_store_2addr_b64 v79, v[16:17], v[55:56] offset1:36
	ds_store_b64 v79, v[7:8] offset:576
	ds_store_2addr_b64 v80, v[18:19], v[63:64] offset1:36
	ds_store_b64 v80, v[9:10] offset:576
	;; [unrolled: 2-line block ×4, first 2 shown]
	v_fma_f64 v[77:78], v[22:23], s[4:5], v[75:76]
	v_fma_f64 v[75:76], v[22:23], s[2:3], v[75:76]
	global_wb scope:SCOPE_SE
	s_wait_dscnt 0x0
	s_barrier_signal -1
	s_barrier_wait -1
	global_inv scope:SCOPE_SE
	ds_load_2addr_b64 v[6:9], v28 offset1:243
	ds_load_2addr_b64 v[10:13], v32 offset0:12 offset1:255
	ds_load_2addr_b64 v[14:17], v31 offset0:8 offset1:251
	;; [unrolled: 1-line block ×4, first 2 shown]
	ds_load_b64 v[26:27], v28 offset:3888
	ds_load_b64 v[45:46], v34 offset:5832
	global_wb scope:SCOPE_SE
	s_wait_dscnt 0x0
	s_barrier_signal -1
	s_barrier_wait -1
	global_inv scope:SCOPE_SE
	ds_store_2addr_b64 v79, v[53:54], v[59:60] offset1:36
	ds_store_b64 v79, v[61:62] offset:576
	ds_store_2addr_b64 v80, v[57:58], v[71:72] offset1:36
	ds_store_b64 v80, v[43:44] offset:576
	;; [unrolled: 2-line block ×4, first 2 shown]
	global_wb scope:SCOPE_SE
	s_wait_dscnt 0x0
	s_barrier_signal -1
	s_barrier_wait -1
	global_inv scope:SCOPE_SE
	s_clause 0x1
	global_load_b128 v[37:40], v82, s[8:9] offset:1632
	global_load_b128 v[41:44], v83, s[8:9] offset:1632
	v_lshrrev_b16 v47, 2, v35
	v_lshrrev_b16 v53, 2, v36
	s_delay_alu instid0(VALU_DEP_2) | instskip(NEXT) | instid1(VALU_DEP_2)
	v_and_b32_e32 v47, 0xffff, v47
	v_and_b32_e32 v53, 0xffff, v53
	s_delay_alu instid0(VALU_DEP_2) | instskip(NEXT) | instid1(VALU_DEP_2)
	v_mul_u32_u24_e32 v47, 0x4bdb, v47
	v_mul_u32_u24_e32 v53, 0x4bdb, v53
	s_delay_alu instid0(VALU_DEP_2) | instskip(NEXT) | instid1(VALU_DEP_2)
	v_lshrrev_b32_e32 v47, 19, v47
	v_lshrrev_b32_e32 v95, 19, v53
	global_load_b128 v[53:56], v82, s[8:9] offset:1648
	v_mul_lo_u16 v57, 0x6c, v47
	v_mul_lo_u16 v58, 0x6c, v95
	s_delay_alu instid0(VALU_DEP_2) | instskip(NEXT) | instid1(VALU_DEP_2)
	v_sub_nc_u16 v57, v35, v57
	v_sub_nc_u16 v58, v36, v58
	s_delay_alu instid0(VALU_DEP_2) | instskip(NEXT) | instid1(VALU_DEP_2)
	v_and_b32_e32 v96, 0xffff, v57
	v_and_b32_e32 v97, 0xffff, v58
	s_delay_alu instid0(VALU_DEP_2) | instskip(NEXT) | instid1(VALU_DEP_2)
	v_lshlrev_b32_e32 v69, 5, v96
	v_lshlrev_b32_e32 v73, 5, v97
	s_clause 0x4
	global_load_b128 v[57:60], v83, s[8:9] offset:1648
	global_load_b128 v[61:64], v69, s[8:9] offset:1632
	;; [unrolled: 1-line block ×5, first 2 shown]
	ds_load_2addr_b64 v[77:80], v32 offset0:12 offset1:255
	ds_load_2addr_b64 v[81:84], v31 offset0:8 offset1:251
	s_wait_loadcnt_dscnt 0x701
	v_mul_f64_e32 v[85:86], v[77:78], v[39:40]
	v_mul_f64_e32 v[39:40], v[10:11], v[39:40]
	s_wait_loadcnt 0x6
	v_mul_f64_e32 v[87:88], v[79:80], v[43:44]
	v_mul_f64_e32 v[43:44], v[12:13], v[43:44]
	s_delay_alu instid0(VALU_DEP_4) | instskip(NEXT) | instid1(VALU_DEP_4)
	v_fma_f64 v[85:86], v[10:11], v[37:38], -v[85:86]
	v_fma_f64 v[77:78], v[77:78], v[37:38], v[39:40]
	s_wait_loadcnt_dscnt 0x500
	v_mul_f64_e32 v[37:38], v[81:82], v[55:56]
	v_mul_f64_e32 v[39:40], v[14:15], v[55:56]
	v_fma_f64 v[55:56], v[12:13], v[41:42], -v[87:88]
	ds_load_2addr_b64 v[10:13], v29 offset0:2 offset1:245
	v_fma_f64 v[41:42], v[79:80], v[41:42], v[43:44]
	s_wait_loadcnt 0x4
	v_mul_f64_e32 v[43:44], v[83:84], v[59:60]
	v_mul_f64_e32 v[59:60], v[16:17], v[59:60]
	s_wait_loadcnt_dscnt 0x300
	v_mul_f64_e32 v[79:80], v[10:11], v[63:64]
	s_wait_loadcnt 0x2
	v_mul_f64_e32 v[87:88], v[12:13], v[67:68]
	v_fma_f64 v[14:15], v[14:15], v[53:54], -v[37:38]
	v_fma_f64 v[53:54], v[81:82], v[53:54], v[39:40]
	ds_load_2addr_b64 v[37:40], v30 offset0:6 offset1:249
	v_add_f64_e32 v[81:82], v[8:9], v[55:56]
	v_fma_f64 v[16:17], v[16:17], v[57:58], -v[43:44]
	v_mul_f64_e32 v[43:44], v[18:19], v[63:64]
	v_fma_f64 v[57:58], v[83:84], v[57:58], v[59:60]
	s_wait_loadcnt_dscnt 0x100
	v_mul_f64_e32 v[63:64], v[37:38], v[71:72]
	v_fma_f64 v[18:19], v[18:19], v[61:62], -v[79:80]
	v_fma_f64 v[79:80], v[20:21], v[65:66], -v[87:88]
	v_mul_f64_e32 v[20:21], v[20:21], v[67:68]
	s_wait_loadcnt 0x0
	v_mul_f64_e32 v[67:68], v[39:40], v[75:76]
	v_add_f64_e64 v[87:88], v[77:78], -v[53:54]
	v_fma_f64 v[43:44], v[10:11], v[61:62], v[43:44]
	v_add_f64_e64 v[93:94], v[41:42], -v[57:58]
	v_fma_f64 v[63:64], v[22:23], v[69:70], -v[63:64]
	v_mul_f64_e32 v[22:23], v[22:23], v[71:72]
	v_add_f64_e32 v[83:84], v[26:27], v[18:19]
	v_add_f64_e32 v[89:90], v[45:46], v[79:80]
	v_fma_f64 v[67:68], v[24:25], v[73:74], -v[67:68]
	v_mul_f64_e32 v[24:25], v[24:25], v[75:76]
	v_add_f64_e32 v[75:76], v[6:7], v[85:86]
	v_add_f64_e32 v[59:60], v[18:19], v[63:64]
	v_fma_f64 v[22:23], v[37:38], v[69:70], v[22:23]
	v_fma_f64 v[37:38], v[12:13], v[65:66], v[20:21]
	v_add_f64_e32 v[65:66], v[77:78], v[53:54]
	v_add_f64_e32 v[20:21], v[85:86], v[14:15]
	v_fma_f64 v[24:25], v[39:40], v[73:74], v[24:25]
	v_add_f64_e32 v[39:40], v[55:56], v[16:17]
	v_add_f64_e32 v[61:62], v[79:80], v[67:68]
	;; [unrolled: 1-line block ×3, first 2 shown]
	ds_load_2addr_b64 v[10:13], v28 offset1:243
	v_add_f64_e64 v[55:56], v[55:56], -v[16:17]
	v_add_f64_e64 v[18:19], v[18:19], -v[63:64]
	v_add_f64_e32 v[63:64], v[83:84], v[63:64]
	v_add_f64_e32 v[16:17], v[81:82], v[16:17]
	s_wait_dscnt 0x0
	v_add_f64_e32 v[77:78], v[10:11], v[77:78]
	v_add_f64_e32 v[41:42], v[12:13], v[41:42]
	v_fma_f64 v[26:27], v[59:60], -0.5, v[26:27]
	v_add_f64_e32 v[71:72], v[43:44], v[22:23]
	v_add_f64_e64 v[59:60], v[43:44], -v[22:23]
	v_fma_f64 v[10:11], v[65:66], -0.5, v[10:11]
	v_add_nc_u32_e32 v65, 0xffffffaf, v52
	v_add_f64_e32 v[73:74], v[37:38], v[24:25]
	v_fma_f64 v[8:9], v[39:40], -0.5, v[8:9]
	ds_load_b64 v[39:40], v28 offset:3888
	ds_load_b64 v[91:92], v34 offset:5832
	v_fma_f64 v[6:7], v[20:21], -0.5, v[6:7]
	v_mov_b32_e32 v21, 0
	s_wait_alu 0xf1ff
	v_cndmask_b32_e64 v98, v65, v33, s0
	v_add_f64_e64 v[65:66], v[85:86], -v[14:15]
	v_fma_f64 v[45:46], v[61:62], -0.5, v[45:46]
	v_add_f64_e64 v[61:62], v[37:38], -v[24:25]
	v_fma_f64 v[12:13], v[69:70], -0.5, v[12:13]
	v_add_f64_e64 v[69:70], v[79:80], -v[67:68]
	v_lshlrev_b32_e32 v20, 1, v52
	v_add_f64_e32 v[14:15], v[75:76], v[14:15]
	v_lshlrev_b32_e32 v85, 3, v5
	v_add_f64_e32 v[67:68], v[89:90], v[67:68]
	v_lshlrev_b32_e32 v86, 3, v97
	global_wb scope:SCOPE_SE
	s_wait_dscnt 0x0
	s_barrier_signal -1
	v_add3_u32 v0, 0, v0, v85
	v_lshlrev_b32_e32 v85, 3, v96
	s_barrier_wait -1
	v_add_f64_e32 v[43:44], v[39:40], v[43:44]
	v_add_f64_e32 v[37:38], v[91:92], v[37:38]
	global_inv scope:SCOPE_SE
	v_add_f64_e32 v[53:54], v[77:78], v[53:54]
	v_add_f64_e32 v[41:42], v[41:42], v[57:58]
	v_fma_f64 v[39:40], v[71:72], -0.5, v[39:40]
	v_fma_f64 v[81:82], v[59:60], s[2:3], v[26:27]
	v_fma_f64 v[59:60], v[59:60], s[4:5], v[26:27]
	v_fma_f64 v[71:72], v[73:74], -0.5, v[91:92]
	v_lshlrev_b64_e32 v[73:74], 4, v[20:21]
	v_fma_f64 v[79:80], v[93:94], s[2:3], v[8:9]
	v_fma_f64 v[75:76], v[87:88], s[2:3], v[6:7]
	;; [unrolled: 1-line block ×5, first 2 shown]
	v_add_co_u32 v26, s0, s8, v73
	v_fma_f64 v[83:84], v[61:62], s[2:3], v[45:46]
	v_fma_f64 v[45:46], v[61:62], s[4:5], v[45:46]
	;; [unrolled: 1-line block ×5, first 2 shown]
	s_wait_alu 0xf1ff
	v_add_co_ci_u32_e64 v27, s0, s9, v74, s0
	v_mul_u32_u24_e32 v9, 0xa20, v47
	v_lshlrev_b32_e32 v20, 1, v98
	v_mul_u32_u24_e32 v47, 0xa20, v95
	v_add_f64_e32 v[43:44], v[43:44], v[22:23]
	v_add_f64_e32 v[37:38], v[37:38], v[24:25]
	s_delay_alu instid0(VALU_DEP_3)
	v_add3_u32 v47, 0, v47, v86
	v_fma_f64 v[73:74], v[18:19], s[4:5], v[39:40]
	v_fma_f64 v[39:40], v[18:19], s[2:3], v[39:40]
	v_add3_u32 v19, 0, v3, v4
	v_fma_f64 v[77:78], v[69:70], s[4:5], v[71:72]
	v_fma_f64 v[69:70], v[69:70], s[2:3], v[71:72]
	v_add3_u32 v71, 0, v9, v85
	ds_store_2addr_b64 v0, v[14:15], v[75:76] offset1:108
	ds_store_b64 v0, v[5:6] offset:1728
	ds_store_2addr_b64 v19, v[16:17], v[79:80] offset1:108
	ds_store_b64 v19, v[7:8] offset:1728
	;; [unrolled: 2-line block ×4, first 2 shown]
	global_wb scope:SCOPE_SE
	s_wait_dscnt 0x0
	s_barrier_signal -1
	s_barrier_wait -1
	global_inv scope:SCOPE_SE
	ds_load_2addr_b64 v[3:6], v28 offset1:243
	ds_load_2addr_b64 v[7:10], v32 offset0:12 offset1:255
	ds_load_2addr_b64 v[11:14], v31 offset0:8 offset1:251
	;; [unrolled: 1-line block ×4, first 2 shown]
	ds_load_b64 v[45:46], v28 offset:3888
	ds_load_b64 v[85:86], v34 offset:5832
	global_wb scope:SCOPE_SE
	s_wait_dscnt 0x0
	s_barrier_signal -1
	s_barrier_wait -1
	global_inv scope:SCOPE_SE
	ds_store_2addr_b64 v0, v[53:54], v[57:58] offset1:108
	ds_store_b64 v0, v[61:62] offset:1728
	ds_store_2addr_b64 v19, v[41:42], v[65:66] offset1:108
	ds_store_b64 v19, v[55:56] offset:1728
	;; [unrolled: 2-line block ×4, first 2 shown]
	v_lshlrev_b64_e32 v[19:20], 4, v[20:21]
	global_wb scope:SCOPE_SE
	s_wait_dscnt 0x0
	s_barrier_signal -1
	s_barrier_wait -1
	global_inv scope:SCOPE_SE
	global_load_b128 v[37:40], v[26:27], off offset:5088
	v_add_co_u32 v19, s0, s8, v19
	s_wait_alu 0xf1ff
	v_add_co_ci_u32_e64 v20, s0, s9, v20, s0
	s_clause 0x1
	global_load_b128 v[41:44], v[19:20], off offset:5088
	global_load_b128 v[53:56], v[26:27], off offset:5104
	v_mul_u32_u24_e32 v0, 0x6523, v1
	v_mul_u32_u24_e32 v1, 0x6523, v2
	v_cmp_lt_u32_e64 s0, 0x50, v52
	s_delay_alu instid0(VALU_DEP_3) | instskip(NEXT) | instid1(VALU_DEP_3)
	v_lshrrev_b32_e32 v47, 23, v0
	v_lshrrev_b32_e32 v0, 23, v1
	s_delay_alu instid0(VALU_DEP_2) | instskip(NEXT) | instid1(VALU_DEP_2)
	v_mul_lo_u16 v1, 0x144, v47
	v_mul_lo_u16 v0, 0x144, v0
	v_mul_u32_u24_e32 v47, 0x1e60, v47
	s_delay_alu instid0(VALU_DEP_3) | instskip(NEXT) | instid1(VALU_DEP_3)
	v_sub_nc_u16 v1, v35, v1
	v_sub_nc_u16 v0, v36, v0
	s_delay_alu instid0(VALU_DEP_2) | instskip(NEXT) | instid1(VALU_DEP_2)
	v_and_b32_e32 v91, 0xffff, v1
	v_and_b32_e32 v92, 0xffff, v0
	s_delay_alu instid0(VALU_DEP_2) | instskip(NEXT) | instid1(VALU_DEP_2)
	v_lshlrev_b32_e32 v0, 5, v91
	v_lshlrev_b32_e32 v1, 5, v92
	s_clause 0x4
	global_load_b128 v[57:60], v[19:20], off offset:5104
	global_load_b128 v[61:64], v0, s[8:9] offset:5088
	global_load_b128 v[65:68], v1, s[8:9] offset:5088
	;; [unrolled: 1-line block ×4, first 2 shown]
	ds_load_2addr_b64 v[77:80], v32 offset0:12 offset1:255
	ds_load_2addr_b64 v[81:84], v31 offset0:8 offset1:251
	s_wait_loadcnt_dscnt 0x701
	v_mul_f64_e32 v[0:1], v[77:78], v[39:40]
	v_mul_f64_e32 v[19:20], v[7:8], v[39:40]
	s_wait_loadcnt 0x6
	v_mul_f64_e32 v[39:40], v[79:80], v[43:44]
	v_mul_f64_e32 v[43:44], v[9:10], v[43:44]
	s_wait_loadcnt_dscnt 0x500
	v_mul_f64_e32 v[87:88], v[81:82], v[55:56]
	v_mul_f64_e32 v[55:56], v[11:12], v[55:56]
	v_fma_f64 v[0:1], v[7:8], v[37:38], -v[0:1]
	v_fma_f64 v[19:20], v[77:78], v[37:38], v[19:20]
	v_fma_f64 v[77:78], v[9:10], v[41:42], -v[39:40]
	ds_load_2addr_b64 v[7:10], v29 offset0:2 offset1:245
	ds_load_2addr_b64 v[37:40], v30 offset0:6 offset1:249
	v_fma_f64 v[41:42], v[79:80], v[41:42], v[43:44]
	s_wait_loadcnt 0x4
	v_mul_f64_e32 v[43:44], v[83:84], v[59:60]
	v_fma_f64 v[11:12], v[11:12], v[53:54], -v[87:88]
	v_fma_f64 v[53:54], v[81:82], v[53:54], v[55:56]
	s_wait_loadcnt_dscnt 0x201
	v_mul_f64_e32 v[89:90], v[9:10], v[67:68]
	s_wait_loadcnt_dscnt 0x100
	v_mul_f64_e32 v[55:56], v[37:38], v[71:72]
	s_wait_loadcnt 0x0
	v_mul_f64_e32 v[81:82], v[39:40], v[75:76]
	v_mul_f64_e32 v[79:80], v[7:8], v[63:64]
	v_fma_f64 v[43:44], v[13:14], v[57:58], -v[43:44]
	v_mul_f64_e32 v[13:14], v[13:14], v[59:60]
	v_mul_f64_e32 v[59:60], v[15:16], v[63:64]
	v_fma_f64 v[63:64], v[17:18], v[65:66], -v[89:90]
	v_mul_f64_e32 v[17:18], v[17:18], v[67:68]
	v_mul_f64_e32 v[67:68], v[22:23], v[71:72]
	v_fma_f64 v[22:23], v[22:23], v[69:70], -v[55:56]
	v_fma_f64 v[55:56], v[24:25], v[73:74], -v[81:82]
	v_mul_f64_e32 v[24:25], v[24:25], v[75:76]
	v_fma_f64 v[15:16], v[15:16], v[61:62], -v[79:80]
	v_add_f64_e64 v[79:80], v[19:20], -v[53:54]
	v_add_f64_e32 v[81:82], v[5:6], v[77:78]
	ds_load_b64 v[89:90], v28 offset:3888
	v_fma_f64 v[13:14], v[83:84], v[57:58], v[13:14]
	v_fma_f64 v[57:58], v[7:8], v[61:62], v[59:60]
	v_add_f64_e32 v[59:60], v[77:78], v[43:44]
	v_add_f64_e32 v[87:88], v[85:86], v[63:64]
	v_fma_f64 v[17:18], v[9:10], v[65:66], v[17:18]
	v_fma_f64 v[37:38], v[37:38], v[69:70], v[67:68]
	v_add_f64_e32 v[67:68], v[19:20], v[53:54]
	v_add_f64_e32 v[65:66], v[63:64], v[55:56]
	v_fma_f64 v[24:25], v[39:40], v[73:74], v[24:25]
	v_add_f64_e32 v[39:40], v[0:1], v[11:12]
	v_add_f64_e32 v[61:62], v[15:16], v[22:23]
	;; [unrolled: 1-line block ×3, first 2 shown]
	ds_load_2addr_b64 v[7:10], v28 offset1:243
	v_add_f64_e32 v[83:84], v[45:46], v[15:16]
	v_add_f64_e64 v[0:1], v[0:1], -v[11:12]
	v_add_f64_e64 v[15:16], v[15:16], -v[22:23]
	;; [unrolled: 1-line block ×3, first 2 shown]
	v_add_f64_e32 v[69:70], v[41:42], v[13:14]
	s_wait_dscnt 0x0
	v_add_f64_e32 v[19:20], v[7:8], v[19:20]
	v_add_f64_e32 v[55:56], v[87:88], v[55:56]
	;; [unrolled: 1-line block ×3, first 2 shown]
	v_fma_f64 v[65:66], v[65:66], -0.5, v[85:86]
	ds_load_b64 v[85:86], v34 offset:5832
	v_add_f64_e32 v[75:76], v[17:18], v[24:25]
	v_fma_f64 v[2:3], v[39:40], -0.5, v[3:4]
	v_add_f64_e64 v[39:40], v[41:42], -v[13:14]
	v_fma_f64 v[4:5], v[59:60], -0.5, v[5:6]
	v_add_f64_e64 v[59:60], v[57:58], -v[37:38]
	v_fma_f64 v[45:46], v[61:62], -0.5, v[45:46]
	v_add_f64_e64 v[61:62], v[17:18], -v[24:25]
	v_fma_f64 v[6:7], v[67:68], -0.5, v[7:8]
	v_add_f64_e32 v[41:42], v[9:10], v[41:42]
	v_add_f64_e32 v[57:58], v[89:90], v[57:58]
	v_add_f64_e64 v[67:68], v[77:78], -v[43:44]
	v_add_f64_e32 v[43:44], v[81:82], v[43:44]
	v_add_f64_e32 v[22:23], v[83:84], v[22:23]
	global_wb scope:SCOPE_SE
	s_wait_dscnt 0x0
	s_barrier_signal -1
	s_barrier_wait -1
	v_fma_f64 v[8:9], v[69:70], -0.5, v[9:10]
	v_add_f64_e32 v[10:11], v[73:74], v[11:12]
	s_wait_alu 0xf1ff
	v_cndmask_b32_e64 v12, 0, 0x1e60, s0
	v_add_f64_e32 v[17:18], v[85:86], v[17:18]
	global_inv scope:SCOPE_SE
	v_add_f64_e32 v[53:54], v[19:20], v[53:54]
	v_fma_f64 v[69:70], v[71:72], -0.5, v[89:90]
	v_fma_f64 v[71:72], v[75:76], -0.5, v[85:86]
	v_fma_f64 v[73:74], v[79:80], s[2:3], v[2:3]
	v_fma_f64 v[2:3], v[79:80], s[4:5], v[2:3]
	;; [unrolled: 1-line block ×8, first 2 shown]
	v_lshlrev_b32_e32 v65, 3, v98
	v_lshlrev_b32_e32 v66, 3, v91
	v_fma_f64 v[77:78], v[0:1], s[2:3], v[6:7]
	v_add_f64_e32 v[41:42], v[41:42], v[13:14]
	v_add_f64_e32 v[37:38], v[57:58], v[37:38]
	v_add3_u32 v85, 0, v12, v65
	v_add3_u32 v47, 0, v47, v66
	v_fma_f64 v[65:66], v[0:1], s[4:5], v[6:7]
	v_fma_f64 v[57:58], v[67:68], s[4:5], v[8:9]
	;; [unrolled: 1-line block ×3, first 2 shown]
	v_add_f64_e32 v[79:80], v[17:18], v[24:25]
	v_lshl_add_u32 v86, v92, 3, 0
	ds_store_b64 v28, v[10:11]
	ds_store_b64 v28, v[73:74] offset:2592
	ds_store_b64 v28, v[2:3] offset:5184
	ds_store_b64 v85, v[43:44]
	ds_store_b64 v85, v[75:76] offset:2592
	ds_store_b64 v85, v[4:5] offset:5184
	;; [unrolled: 3-line block ×3, first 2 shown]
	ds_store_b64 v86, v[55:56] offset:15552
	ds_store_b64 v86, v[59:60] offset:18144
	ds_store_b64 v86, v[61:62] offset:20736
	v_fma_f64 v[81:82], v[15:16], s[4:5], v[69:70]
	v_fma_f64 v[69:70], v[15:16], s[2:3], v[69:70]
	;; [unrolled: 1-line block ×4, first 2 shown]
	global_wb scope:SCOPE_SE
	s_wait_dscnt 0x0
	s_barrier_signal -1
	s_barrier_wait -1
	global_inv scope:SCOPE_SE
	ds_load_2addr_b64 v[0:3], v28 offset1:243
	ds_load_2addr_b64 v[4:7], v32 offset0:12 offset1:255
	ds_load_2addr_b64 v[8:11], v31 offset0:8 offset1:251
	;; [unrolled: 1-line block ×4, first 2 shown]
	ds_load_b64 v[22:23], v28 offset:3888
	ds_load_b64 v[24:25], v34 offset:5832
	global_wb scope:SCOPE_SE
	s_wait_dscnt 0x0
	s_barrier_signal -1
	s_barrier_wait -1
	global_inv scope:SCOPE_SE
	ds_store_b64 v28, v[53:54]
	ds_store_b64 v28, v[65:66] offset:2592
	ds_store_b64 v28, v[77:78] offset:5184
	ds_store_b64 v85, v[41:42]
	ds_store_b64 v85, v[57:58] offset:2592
	ds_store_b64 v85, v[67:68] offset:5184
	;; [unrolled: 3-line block ×3, first 2 shown]
	ds_store_b64 v86, v[79:80] offset:15552
	ds_store_b64 v86, v[83:84] offset:18144
	;; [unrolled: 1-line block ×3, first 2 shown]
	global_wb scope:SCOPE_SE
	s_wait_dscnt 0x0
	s_barrier_signal -1
	s_barrier_wait -1
	global_inv scope:SCOPE_SE
	s_and_saveexec_b32 s0, vcc_lo
	s_cbranch_execz .LBB0_15
; %bb.14:
	v_lshlrev_b32_e32 v20, 1, v36
	v_mul_lo_u32 v47, s10, v51
	s_delay_alu instid0(VALU_DEP_2) | instskip(SKIP_1) | instid1(VALU_DEP_1)
	v_lshlrev_b64_e32 v[36:37], 4, v[20:21]
	v_lshlrev_b32_e32 v20, 1, v35
	v_lshlrev_b64_e32 v[57:58], 4, v[20:21]
	v_lshlrev_b32_e32 v20, 1, v33
	s_delay_alu instid0(VALU_DEP_4)
	v_add_co_u32 v53, vcc_lo, s8, v36
	s_wait_alu 0xfffd
	v_add_co_ci_u32_e32 v54, vcc_lo, s9, v37, vcc_lo
	s_clause 0x1
	global_load_b128 v[35:38], v[26:27], off offset:15456
	global_load_b128 v[39:42], v[26:27], off offset:15472
	v_lshlrev_b64_e32 v[26:27], 4, v[20:21]
	v_add_co_u32 v61, vcc_lo, s8, v57
	s_wait_alu 0xfffd
	v_add_co_ci_u32_e32 v62, vcc_lo, s9, v58, vcc_lo
	s_clause 0x1
	global_load_b128 v[43:46], v[53:54], off offset:15472
	global_load_b128 v[53:56], v[53:54], off offset:15456
	v_add_co_u32 v26, vcc_lo, s8, v26
	s_wait_alu 0xfffd
	v_add_co_ci_u32_e32 v27, vcc_lo, s9, v27, vcc_lo
	s_clause 0x3
	global_load_b128 v[57:60], v[61:62], off offset:15456
	global_load_b128 v[61:64], v[61:62], off offset:15472
	global_load_b128 v[65:68], v[26:27], off offset:15456
	global_load_b128 v[69:72], v[26:27], off offset:15472
	ds_load_2addr_b64 v[73:76], v32 offset0:12 offset1:255
	ds_load_2addr_b64 v[77:80], v31 offset0:8 offset1:251
	;; [unrolled: 1-line block ×4, first 2 shown]
	v_mul_lo_u32 v20, s11, v50
	v_mad_co_u64_u32 v[50:51], null, s10, v50, 0
	s_delay_alu instid0(VALU_DEP_1)
	v_add3_u32 v51, v51, v47, v20
	s_wait_loadcnt_dscnt 0x703
	v_mul_f64_e32 v[26:27], v[73:74], v[37:38]
	v_mul_f64_e32 v[37:38], v[4:5], v[37:38]
	s_wait_loadcnt_dscnt 0x602
	v_mul_f64_e32 v[85:86], v[77:78], v[41:42]
	v_mul_f64_e32 v[41:42], v[8:9], v[41:42]
	s_wait_loadcnt 0x5
	v_mul_f64_e32 v[89:90], v[18:19], v[45:46]
	s_wait_loadcnt 0x4
	v_mul_f64_e32 v[87:88], v[14:15], v[55:56]
	s_wait_dscnt 0x1
	v_mul_f64_e32 v[55:56], v[83:84], v[55:56]
	s_wait_dscnt 0x0
	v_mul_f64_e32 v[45:46], v[31:32], v[45:46]
	s_wait_loadcnt 0x3
	v_mul_f64_e32 v[91:92], v[12:13], v[59:60]
	v_mul_f64_e32 v[59:60], v[81:82], v[59:60]
	s_wait_loadcnt 0x1
	v_mul_f64_e32 v[95:96], v[6:7], v[67:68]
	s_wait_loadcnt 0x0
	v_mul_f64_e32 v[97:98], v[10:11], v[71:72]
	v_mul_f64_e32 v[67:68], v[75:76], v[67:68]
	;; [unrolled: 1-line block ×5, first 2 shown]
	v_fma_f64 v[26:27], v[4:5], v[35:36], -v[26:27]
	v_fma_f64 v[35:36], v[35:36], v[73:74], v[37:38]
	v_fma_f64 v[8:9], v[8:9], v[39:40], -v[85:86]
	v_fma_f64 v[39:40], v[39:40], v[77:78], v[41:42]
	v_mul_hi_u32 v73, 0x86d90545, v52
	v_add_nc_u32_e32 v74, 0xf3, v52
	v_fma_f64 v[31:32], v[43:44], v[31:32], v[89:90]
	v_fma_f64 v[41:42], v[53:54], v[83:84], v[87:88]
	v_fma_f64 v[14:15], v[14:15], v[53:54], -v[55:56]
	v_fma_f64 v[18:19], v[18:19], v[43:44], -v[45:46]
	v_fma_f64 v[43:44], v[57:58], v[81:82], v[91:92]
	v_fma_f64 v[12:13], v[12:13], v[57:58], -v[59:60]
	v_mov_b32_e32 v59, v21
	v_fma_f64 v[45:46], v[65:66], v[75:76], v[95:96]
	v_fma_f64 v[53:54], v[69:70], v[79:80], v[97:98]
	v_fma_f64 v[55:56], v[6:7], v[65:66], -v[67:68]
	v_fma_f64 v[57:58], v[10:11], v[69:70], -v[71:72]
	v_fma_f64 v[29:30], v[61:62], v[29:30], v[93:94]
	v_fma_f64 v[16:17], v[16:17], v[61:62], -v[63:64]
	v_add_nc_u32_e32 v60, 0x1e6, v52
	v_add_nc_u32_e32 v61, 0x2d9, v52
	v_lshlrev_b64_e32 v[10:11], 4, v[48:49]
	v_mov_b32_e32 v48, v21
	v_mul_hi_u32 v49, 0x86d90545, v74
	v_mul_hi_u32 v62, 0x86d90545, v60
	;; [unrolled: 1-line block ×3, first 2 shown]
	v_lshrrev_b32_e32 v64, 9, v73
	ds_load_b64 v[33:34], v34 offset:5832
	ds_load_b64 v[37:38], v28 offset:3888
	ds_load_2addr_b64 v[4:7], v28 offset1:243
	v_lshrrev_b32_e32 v20, 9, v49
	v_mul_u32_u24_e32 v47, 0x3cc, v64
	v_lshrrev_b32_e32 v76, 9, v62
	v_lshlrev_b64_e32 v[49:50], 4, v[50:51]
	v_lshrrev_b32_e32 v102, 9, v63
	v_mul_u32_u24_e32 v51, 0x3cc, v20
	v_sub_nc_u32_e32 v47, v52, v47
	v_mul_u32_u24_e32 v52, 0x3cc, v76
	v_add_f64_e32 v[78:79], v[0:1], v[26:27]
	v_mul_u32_u24_e32 v62, 0x3cc, v102
	v_add_co_u32 v72, vcc_lo, s6, v49
	s_wait_alu 0xfffd
	v_add_co_ci_u32_e32 v73, vcc_lo, s7, v50, vcc_lo
	v_sub_nc_u32_e32 v64, v74, v51
	v_add_f64_e32 v[49:50], v[35:36], v[39:40]
	v_sub_nc_u32_e32 v77, v60, v52
	v_add_f64_e32 v[51:52], v[26:27], v[8:9]
	;; [unrolled: 2-line block ×3, first 2 shown]
	v_add_f64_e32 v[62:63], v[14:15], v[18:19]
	v_add_f64_e32 v[66:67], v[45:46], v[53:54]
	v_mad_u32_u24 v20, 0xb64, v20, v64
	v_add_f64_e32 v[70:71], v[55:56], v[57:58]
	v_add_f64_e32 v[64:65], v[43:44], v[29:30]
	;; [unrolled: 1-line block ×3, first 2 shown]
	v_add_co_u32 v104, vcc_lo, v72, v10
	v_mov_b32_e32 v28, v21
	v_lshlrev_b32_e32 v74, 4, v47
	v_add_nc_u32_e32 v47, 0x3cc, v20
	s_wait_alu 0xfffd
	v_add_co_ci_u32_e32 v105, vcc_lo, v73, v11, vcc_lo
	v_lshlrev_b64_e32 v[10:11], 4, v[20:21]
	v_add_nc_u32_e32 v20, 0x798, v20
	v_add_co_u32 v72, vcc_lo, v104, v74
	v_add_f64_e64 v[80:81], v[26:27], -v[8:9]
	v_add_f64_e32 v[84:85], v[24:25], v[14:15]
	s_delay_alu instid0(VALU_DEP_4)
	v_lshlrev_b64_e32 v[74:75], 4, v[20:21]
	v_mad_u32_u24 v20, 0xb64, v76, v77
	s_wait_dscnt 0x0
	v_add_f64_e32 v[76:77], v[35:36], v[4:5]
	v_add_f64_e64 v[35:36], v[35:36], -v[39:40]
	v_add_f64_e32 v[88:89], v[22:23], v[12:13]
	v_add_f64_e64 v[86:87], v[14:15], -v[18:19]
	v_add_f64_e32 v[14:15], v[43:44], v[37:38]
	v_add_f64_e32 v[90:91], v[45:46], v[6:7]
	;; [unrolled: 1-line block ×4, first 2 shown]
	v_add_f64_e64 v[41:42], v[41:42], -v[31:32]
	v_add_f64_e64 v[96:97], v[43:44], -v[29:30]
	v_add_f64_e64 v[43:44], v[55:56], -v[57:58]
	v_add_f64_e64 v[94:95], v[12:13], -v[16:17]
	v_fma_f64 v[49:50], v[49:50], -0.5, v[4:5]
	v_lshlrev_b64_e32 v[47:48], 4, v[47:48]
	v_fma_f64 v[51:52], v[51:52], -0.5, v[0:1]
	v_add_nc_u32_e32 v27, 0x3cc, v20
	v_fma_f64 v[33:34], v[60:61], -0.5, v[33:34]
	v_fma_f64 v[55:56], v[62:63], -0.5, v[24:25]
	v_add_f64_e64 v[60:61], v[45:46], -v[53:54]
	v_fma_f64 v[45:46], v[66:67], -0.5, v[6:7]
	v_fma_f64 v[66:67], v[70:71], -0.5, v[2:3]
	;; [unrolled: 1-line block ×4, first 2 shown]
	v_lshlrev_b64_e32 v[70:71], 4, v[20:21]
	v_add_nc_u32_e32 v20, 0x798, v20
	s_wait_alu 0xfffd
	v_add_co_ci_u32_e32 v73, vcc_lo, 0, v105, vcc_lo
	v_add_f64_e32 v[0:1], v[78:79], v[8:9]
	v_add_co_u32 v68, vcc_lo, v104, v10
	s_wait_alu 0xfffd
	v_add_co_ci_u32_e32 v69, vcc_lo, v105, v11, vcc_lo
	v_lshlrev_b64_e32 v[100:101], 4, v[20:21]
	v_mad_u32_u24 v20, 0xb64, v102, v103
	v_lshlrev_b64_e32 v[102:103], 4, v[27:28]
	v_add_f64_e32 v[4:5], v[84:85], v[18:19]
	v_add_co_u32 v98, vcc_lo, v104, v47
	v_add_f64_e32 v[2:3], v[76:77], v[39:40]
	s_wait_alu 0xfffd
	v_add_co_ci_u32_e32 v99, vcc_lo, v105, v48, vcc_lo
	v_add_f64_e32 v[8:9], v[88:89], v[16:17]
	v_add_f64_e32 v[10:11], v[29:30], v[14:15]
	;; [unrolled: 1-line block ×5, first 2 shown]
	v_add_co_u32 v74, vcc_lo, v104, v74
	s_wait_alu 0xfffd
	v_add_co_ci_u32_e32 v75, vcc_lo, v105, v75, vcc_lo
	v_fma_f64 v[24:25], v[80:81], s[4:5], v[49:50]
	v_fma_f64 v[18:19], v[80:81], s[2:3], v[49:50]
	;; [unrolled: 1-line block ×16, first 2 shown]
	v_add_co_u32 v50, vcc_lo, v104, v70
	v_add_nc_u32_e32 v58, 0x3cc, v20
	s_wait_alu 0xfffd
	v_add_co_ci_u32_e32 v51, vcc_lo, v105, v71, vcc_lo
	v_lshlrev_b64_e32 v[52:53], 4, v[20:21]
	v_add_co_u32 v54, vcc_lo, v104, v102
	v_add_nc_u32_e32 v20, 0x798, v20
	s_wait_alu 0xfffd
	v_add_co_ci_u32_e32 v55, vcc_lo, v105, v103, vcc_lo
	v_add_co_u32 v56, vcc_lo, v104, v100
	v_lshlrev_b64_e32 v[58:59], 4, v[58:59]
	s_wait_alu 0xfffd
	v_add_co_ci_u32_e32 v57, vcc_lo, v105, v101, vcc_lo
	v_lshlrev_b64_e32 v[20:21], 4, v[20:21]
	v_add_co_u32 v52, vcc_lo, v104, v52
	s_wait_alu 0xfffd
	v_add_co_ci_u32_e32 v53, vcc_lo, v105, v53, vcc_lo
	v_add_co_u32 v58, vcc_lo, v104, v58
	s_wait_alu 0xfffd
	v_add_co_ci_u32_e32 v59, vcc_lo, v105, v59, vcc_lo
	;; [unrolled: 3-line block ×3, first 2 shown]
	s_clause 0xb
	global_store_b128 v[72:73], v[0:3], off
	global_store_b128 v[72:73], v[22:25], off offset:15552
	global_store_b128 v[72:73], v[16:19], off offset:31104
	global_store_b128 v[68:69], v[12:15], off
	global_store_b128 v[98:99], v[42:45], off
	;; [unrolled: 1-line block ×9, first 2 shown]
.LBB0_15:
	s_nop 0
	s_sendmsg sendmsg(MSG_DEALLOC_VGPRS)
	s_endpgm
	.section	.rodata,"a",@progbits
	.p2align	6, 0x0
	.amdhsa_kernel fft_rtc_fwd_len2916_factors_6_6_3_3_3_3_wgs_243_tpt_243_halfLds_dp_op_CI_CI_unitstride_sbrr_dirReg
		.amdhsa_group_segment_fixed_size 0
		.amdhsa_private_segment_fixed_size 0
		.amdhsa_kernarg_size 104
		.amdhsa_user_sgpr_count 2
		.amdhsa_user_sgpr_dispatch_ptr 0
		.amdhsa_user_sgpr_queue_ptr 0
		.amdhsa_user_sgpr_kernarg_segment_ptr 1
		.amdhsa_user_sgpr_dispatch_id 0
		.amdhsa_user_sgpr_private_segment_size 0
		.amdhsa_wavefront_size32 1
		.amdhsa_uses_dynamic_stack 0
		.amdhsa_enable_private_segment 0
		.amdhsa_system_sgpr_workgroup_id_x 1
		.amdhsa_system_sgpr_workgroup_id_y 0
		.amdhsa_system_sgpr_workgroup_id_z 0
		.amdhsa_system_sgpr_workgroup_info 0
		.amdhsa_system_vgpr_workitem_id 0
		.amdhsa_next_free_vgpr 106
		.amdhsa_next_free_sgpr 39
		.amdhsa_reserve_vcc 1
		.amdhsa_float_round_mode_32 0
		.amdhsa_float_round_mode_16_64 0
		.amdhsa_float_denorm_mode_32 3
		.amdhsa_float_denorm_mode_16_64 3
		.amdhsa_fp16_overflow 0
		.amdhsa_workgroup_processor_mode 1
		.amdhsa_memory_ordered 1
		.amdhsa_forward_progress 0
		.amdhsa_round_robin_scheduling 0
		.amdhsa_exception_fp_ieee_invalid_op 0
		.amdhsa_exception_fp_denorm_src 0
		.amdhsa_exception_fp_ieee_div_zero 0
		.amdhsa_exception_fp_ieee_overflow 0
		.amdhsa_exception_fp_ieee_underflow 0
		.amdhsa_exception_fp_ieee_inexact 0
		.amdhsa_exception_int_div_zero 0
	.end_amdhsa_kernel
	.text
.Lfunc_end0:
	.size	fft_rtc_fwd_len2916_factors_6_6_3_3_3_3_wgs_243_tpt_243_halfLds_dp_op_CI_CI_unitstride_sbrr_dirReg, .Lfunc_end0-fft_rtc_fwd_len2916_factors_6_6_3_3_3_3_wgs_243_tpt_243_halfLds_dp_op_CI_CI_unitstride_sbrr_dirReg
                                        ; -- End function
	.section	.AMDGPU.csdata,"",@progbits
; Kernel info:
; codeLenInByte = 9856
; NumSgprs: 41
; NumVgprs: 106
; ScratchSize: 0
; MemoryBound: 1
; FloatMode: 240
; IeeeMode: 1
; LDSByteSize: 0 bytes/workgroup (compile time only)
; SGPRBlocks: 5
; VGPRBlocks: 13
; NumSGPRsForWavesPerEU: 41
; NumVGPRsForWavesPerEU: 106
; Occupancy: 12
; WaveLimiterHint : 1
; COMPUTE_PGM_RSRC2:SCRATCH_EN: 0
; COMPUTE_PGM_RSRC2:USER_SGPR: 2
; COMPUTE_PGM_RSRC2:TRAP_HANDLER: 0
; COMPUTE_PGM_RSRC2:TGID_X_EN: 1
; COMPUTE_PGM_RSRC2:TGID_Y_EN: 0
; COMPUTE_PGM_RSRC2:TGID_Z_EN: 0
; COMPUTE_PGM_RSRC2:TIDIG_COMP_CNT: 0
	.text
	.p2alignl 7, 3214868480
	.fill 96, 4, 3214868480
	.type	__hip_cuid_221af2f55c85bbd6,@object ; @__hip_cuid_221af2f55c85bbd6
	.section	.bss,"aw",@nobits
	.globl	__hip_cuid_221af2f55c85bbd6
__hip_cuid_221af2f55c85bbd6:
	.byte	0                               ; 0x0
	.size	__hip_cuid_221af2f55c85bbd6, 1

	.ident	"AMD clang version 19.0.0git (https://github.com/RadeonOpenCompute/llvm-project roc-6.4.0 25133 c7fe45cf4b819c5991fe208aaa96edf142730f1d)"
	.section	".note.GNU-stack","",@progbits
	.addrsig
	.addrsig_sym __hip_cuid_221af2f55c85bbd6
	.amdgpu_metadata
---
amdhsa.kernels:
  - .args:
      - .actual_access:  read_only
        .address_space:  global
        .offset:         0
        .size:           8
        .value_kind:     global_buffer
      - .offset:         8
        .size:           8
        .value_kind:     by_value
      - .actual_access:  read_only
        .address_space:  global
        .offset:         16
        .size:           8
        .value_kind:     global_buffer
      - .actual_access:  read_only
        .address_space:  global
        .offset:         24
        .size:           8
        .value_kind:     global_buffer
      - .actual_access:  read_only
        .address_space:  global
        .offset:         32
        .size:           8
        .value_kind:     global_buffer
      - .offset:         40
        .size:           8
        .value_kind:     by_value
      - .actual_access:  read_only
        .address_space:  global
        .offset:         48
        .size:           8
        .value_kind:     global_buffer
      - .actual_access:  read_only
        .address_space:  global
        .offset:         56
        .size:           8
        .value_kind:     global_buffer
      - .offset:         64
        .size:           4
        .value_kind:     by_value
      - .actual_access:  read_only
        .address_space:  global
        .offset:         72
        .size:           8
        .value_kind:     global_buffer
      - .actual_access:  read_only
        .address_space:  global
        .offset:         80
        .size:           8
        .value_kind:     global_buffer
      - .actual_access:  read_only
        .address_space:  global
        .offset:         88
        .size:           8
        .value_kind:     global_buffer
      - .actual_access:  write_only
        .address_space:  global
        .offset:         96
        .size:           8
        .value_kind:     global_buffer
    .group_segment_fixed_size: 0
    .kernarg_segment_align: 8
    .kernarg_segment_size: 104
    .language:       OpenCL C
    .language_version:
      - 2
      - 0
    .max_flat_workgroup_size: 243
    .name:           fft_rtc_fwd_len2916_factors_6_6_3_3_3_3_wgs_243_tpt_243_halfLds_dp_op_CI_CI_unitstride_sbrr_dirReg
    .private_segment_fixed_size: 0
    .sgpr_count:     41
    .sgpr_spill_count: 0
    .symbol:         fft_rtc_fwd_len2916_factors_6_6_3_3_3_3_wgs_243_tpt_243_halfLds_dp_op_CI_CI_unitstride_sbrr_dirReg.kd
    .uniform_work_group_size: 1
    .uses_dynamic_stack: false
    .vgpr_count:     106
    .vgpr_spill_count: 0
    .wavefront_size: 32
    .workgroup_processor_mode: 1
amdhsa.target:   amdgcn-amd-amdhsa--gfx1201
amdhsa.version:
  - 1
  - 2
...

	.end_amdgpu_metadata
